;; amdgpu-corpus repo=ROCm/rocFFT kind=compiled arch=gfx1201 opt=O3
	.text
	.amdgcn_target "amdgcn-amd-amdhsa--gfx1201"
	.amdhsa_code_object_version 6
	.protected	bluestein_single_back_len2197_dim1_sp_op_CI_CI ; -- Begin function bluestein_single_back_len2197_dim1_sp_op_CI_CI
	.globl	bluestein_single_back_len2197_dim1_sp_op_CI_CI
	.p2align	8
	.type	bluestein_single_back_len2197_dim1_sp_op_CI_CI,@function
bluestein_single_back_len2197_dim1_sp_op_CI_CI: ; @bluestein_single_back_len2197_dim1_sp_op_CI_CI
; %bb.0:
	s_load_b128 s[12:15], s[0:1], 0x28
	v_mul_u32_u24_e32 v1, 0x184, v0
	s_mov_b32 s2, exec_lo
	v_mov_b32_e32 v55, 0
	s_delay_alu instid0(VALU_DEP_2) | instskip(NEXT) | instid1(VALU_DEP_1)
	v_lshrrev_b32_e32 v1, 16, v1
	v_add_nc_u32_e32 v54, ttmp9, v1
	s_wait_kmcnt 0x0
	s_delay_alu instid0(VALU_DEP_1)
	v_cmpx_gt_u64_e64 s[12:13], v[54:55]
	s_cbranch_execz .LBB0_2
; %bb.1:
	s_clause 0x1
	s_load_b128 s[4:7], s[0:1], 0x18
	s_load_b128 s[8:11], s[0:1], 0x0
	v_mul_lo_u16 v1, 0xa9, v1
	s_load_b64 s[0:1], s[0:1], 0x38
	s_delay_alu instid0(VALU_DEP_1) | instskip(NEXT) | instid1(VALU_DEP_1)
	v_sub_nc_u16 v22, v0, v1
	v_and_b32_e32 v80, 0xffff, v22
	s_wait_kmcnt 0x0
	s_load_b128 s[16:19], s[4:5], 0x0
	s_wait_kmcnt 0x0
	v_mad_co_u64_u32 v[0:1], null, s18, v54, 0
	v_mad_co_u64_u32 v[2:3], null, s16, v80, 0
	s_mul_u64 s[2:3], s[16:17], 0x548
	s_delay_alu instid0(VALU_DEP_1) | instskip(NEXT) | instid1(VALU_DEP_1)
	v_mad_co_u64_u32 v[4:5], null, s19, v54, v[1:2]
	v_mov_b32_e32 v1, v4
	s_delay_alu instid0(VALU_DEP_3)
	v_mad_co_u64_u32 v[5:6], null, s17, v80, v[3:4]
	v_lshlrev_b32_e32 v79, 3, v80
	s_clause 0x3
	global_load_b64 v[77:78], v79, s[8:9]
	global_load_b64 v[75:76], v79, s[8:9] offset:1352
	global_load_b64 v[73:74], v79, s[8:9] offset:2704
	;; [unrolled: 1-line block ×3, first 2 shown]
	v_dual_mov_b32 v3, v5 :: v_dual_add_nc_u32 v84, 0x1400, v79
	v_lshlrev_b64_e32 v[0:1], 3, v[0:1]
	s_clause 0x6
	global_load_b64 v[71:72], v79, s[8:9] offset:5408
	global_load_b64 v[67:68], v79, s[8:9] offset:6760
	global_load_b64 v[65:66], v79, s[8:9] offset:8112
	global_load_b64 v[63:64], v79, s[8:9] offset:9464
	global_load_b64 v[57:58], v79, s[8:9] offset:10816
	global_load_b64 v[55:56], v79, s[8:9] offset:12168
	global_load_b64 v[52:53], v79, s[8:9] offset:13520
	v_lshlrev_b64_e32 v[2:3], 3, v[2:3]
	v_add_co_u32 v0, vcc_lo, s14, v0
	v_add_co_ci_u32_e32 v1, vcc_lo, s15, v1, vcc_lo
	s_delay_alu instid0(VALU_DEP_2) | instskip(SKIP_1) | instid1(VALU_DEP_2)
	v_add_co_u32 v0, vcc_lo, v0, v2
	s_wait_alu 0xfffd
	v_add_co_ci_u32_e32 v1, vcc_lo, v1, v3, vcc_lo
	s_delay_alu instid0(VALU_DEP_2) | instskip(SKIP_1) | instid1(VALU_DEP_2)
	v_add_co_u32 v2, vcc_lo, v0, s2
	s_wait_alu 0xfffd
	v_add_co_ci_u32_e32 v3, vcc_lo, s3, v1, vcc_lo
	global_load_b64 v[0:1], v[0:1], off
	v_add_co_u32 v4, vcc_lo, v2, s2
	s_wait_alu 0xfffd
	v_add_co_ci_u32_e32 v5, vcc_lo, s3, v3, vcc_lo
	global_load_b64 v[2:3], v[2:3], off
	v_add_co_u32 v6, vcc_lo, v4, s2
	s_wait_alu 0xfffd
	v_add_co_ci_u32_e32 v7, vcc_lo, s3, v5, vcc_lo
	s_delay_alu instid0(VALU_DEP_2) | instskip(SKIP_1) | instid1(VALU_DEP_2)
	v_add_co_u32 v8, vcc_lo, v6, s2
	s_wait_alu 0xfffd
	v_add_co_ci_u32_e32 v9, vcc_lo, s3, v7, vcc_lo
	s_delay_alu instid0(VALU_DEP_2) | instskip(SKIP_1) | instid1(VALU_DEP_2)
	v_add_co_u32 v10, vcc_lo, v8, s2
	s_wait_alu 0xfffd
	v_add_co_ci_u32_e32 v11, vcc_lo, s3, v9, vcc_lo
	s_clause 0x2
	global_load_b64 v[4:5], v[4:5], off
	global_load_b64 v[6:7], v[6:7], off
	;; [unrolled: 1-line block ×3, first 2 shown]
	v_add_co_u32 v12, vcc_lo, v10, s2
	s_wait_alu 0xfffd
	v_add_co_ci_u32_e32 v13, vcc_lo, s3, v11, vcc_lo
	global_load_b64 v[10:11], v[10:11], off
	v_add_co_u32 v14, vcc_lo, v12, s2
	s_wait_alu 0xfffd
	v_add_co_ci_u32_e32 v15, vcc_lo, s3, v13, vcc_lo
	global_load_b64 v[12:13], v[12:13], off
	;; [unrolled: 4-line block ×6, first 2 shown]
	v_add_co_u32 v25, vcc_lo, v23, s2
	s_wait_alu 0xfffd
	v_add_co_ci_u32_e32 v26, vcc_lo, s3, v24, vcc_lo
	s_add_nc_u64 s[2:3], s[8:9], 0x44a8
	s_wait_loadcnt 0xa
	v_mul_f32_e32 v28, v0, v78
	global_load_b64 v[59:60], v79, s[8:9] offset:14872
	global_load_b64 v[23:24], v[23:24], off
	global_load_b64 v[61:62], v79, s[8:9] offset:16224
	global_load_b64 v[25:26], v[25:26], off
	v_dual_mul_f32 v27, v1, v78 :: v_dual_add_nc_u32 v82, 0x2800, v79
	v_add_nc_u32_e32 v85, 0x800, v79
	s_wait_loadcnt 0xd
	v_mul_f32_e32 v29, v3, v76
	v_add_nc_u32_e32 v83, 0x1e00, v79
	v_fmac_f32_e32 v27, v0, v77
	v_fma_f32 v28, v1, v77, -v28
	s_load_b128 s[4:7], s[6:7], 0x0
	s_wait_loadcnt 0xc
	v_dual_mul_f32 v0, v5, v74 :: v_dual_add_nc_u32 v81, 0x3400, v79
	v_mul_f32_e32 v31, v4, v74
	s_wait_loadcnt 0xb
	v_mul_f32_e32 v32, v6, v70
	s_delay_alu instid0(VALU_DEP_3) | instskip(SKIP_3) | instid1(VALU_DEP_2)
	v_dual_fmac_f32 v29, v2, v75 :: v_dual_fmac_f32 v0, v4, v73
	s_wait_loadcnt 0xa
	v_mul_f32_e32 v4, v9, v72
	v_dual_mul_f32 v1, v2, v76 :: v_dual_mul_f32 v2, v7, v70
	v_fmac_f32_e32 v4, v8, v71
	s_delay_alu instid0(VALU_DEP_2) | instskip(NEXT) | instid1(VALU_DEP_3)
	v_fma_f32 v30, v3, v75, -v1
	v_fmac_f32_e32 v2, v6, v69
	v_fma_f32 v1, v5, v73, -v31
	v_fma_f32 v3, v7, v69, -v32
	s_wait_loadcnt 0x9
	v_mul_f32_e32 v6, v11, v68
	v_mul_f32_e32 v5, v8, v72
	ds_store_2addr_b64 v79, v[27:28], v[29:30] offset1:169
	ds_store_2addr_b64 v85, v[0:1], v[2:3] offset0:82 offset1:251
	v_fmac_f32_e32 v6, v10, v67
	v_fma_f32 v5, v9, v71, -v5
	s_wait_loadcnt 0x8
	v_dual_mul_f32 v1, v10, v68 :: v_dual_mul_f32 v0, v13, v66
	s_wait_loadcnt 0x7
	v_dual_mul_f32 v3, v12, v66 :: v_dual_mul_f32 v2, v15, v64
	;; [unrolled: 2-line block ×3, first 2 shown]
	v_fma_f32 v7, v11, v67, -v1
	s_wait_loadcnt 0x5
	v_dual_mul_f32 v11, v18, v56 :: v_dual_fmac_f32 v0, v12, v65
	v_fma_f32 v1, v13, v65, -v3
	v_fmac_f32_e32 v2, v14, v63
	v_fma_f32 v3, v15, v63, -v9
	v_dual_mul_f32 v9, v16, v58 :: v_dual_mul_f32 v10, v19, v56
	s_wait_loadcnt 0x4
	v_mul_f32_e32 v13, v20, v53
	v_fmac_f32_e32 v8, v16, v57
	v_mul_f32_e32 v12, v21, v53
	v_fma_f32 v9, v17, v57, -v9
	v_fmac_f32_e32 v10, v18, v55
	v_fma_f32 v11, v19, v55, -v11
	v_fma_f32 v13, v21, v52, -v13
	v_fmac_f32_e32 v12, v20, v52
	s_wait_loadcnt 0x2
	v_mul_f32_e32 v14, v24, v60
	s_wait_loadcnt 0x0
	v_dual_mul_f32 v15, v23, v60 :: v_dual_mul_f32 v16, v26, v62
	s_delay_alu instid0(VALU_DEP_2) | instskip(NEXT) | instid1(VALU_DEP_2)
	v_dual_mul_f32 v17, v25, v62 :: v_dual_fmac_f32 v14, v23, v59
	v_fma_f32 v15, v24, v59, -v15
	s_delay_alu instid0(VALU_DEP_3) | instskip(NEXT) | instid1(VALU_DEP_3)
	v_fmac_f32_e32 v16, v25, v61
	v_fma_f32 v17, v26, v61, -v17
	ds_store_2addr_b64 v84, v[4:5], v[6:7] offset0:36 offset1:205
	ds_store_2addr_b64 v83, v[0:1], v[2:3] offset0:54 offset1:223
	;; [unrolled: 1-line block ×4, first 2 shown]
	ds_store_b64 v79, v[16:17] offset:16224
	global_wb scope:SCOPE_SE
	s_wait_dscnt 0x0
	s_wait_kmcnt 0x0
	s_barrier_signal -1
	s_barrier_wait -1
	global_inv scope:SCOPE_SE
	ds_load_2addr_b64 v[8:11], v79 offset1:169
	ds_load_b64 v[20:21], v79 offset:16224
	ds_load_2addr_b64 v[16:19], v85 offset0:82 offset1:251
	ds_load_2addr_b64 v[0:3], v81 offset0:26 offset1:195
	;; [unrolled: 1-line block ×5, first 2 shown]
	global_wb scope:SCOPE_SE
	s_wait_dscnt 0x0
	s_barrier_signal -1
	s_barrier_wait -1
	global_inv scope:SCOPE_SE
	v_dual_add_f32 v30, v9, v11 :: v_dual_sub_f32 v33, v10, v20
	v_add_f32_e32 v29, v8, v10
	v_dual_add_f32 v35, v2, v16 :: v_dual_add_f32 v32, v21, v11
	v_dual_sub_f32 v37, v16, v2 :: v_dual_sub_f32 v34, v11, v21
	v_dual_add_f32 v39, v0, v18 :: v_dual_add_f32 v36, v3, v17
	v_dual_sub_f32 v41, v18, v0 :: v_dual_sub_f32 v38, v17, v3
	v_add_f32_e32 v43, v6, v12
	v_add_f32_e32 v17, v30, v17
	v_dual_mul_f32 v30, 0xbeedf032, v33 :: v_dual_add_f32 v31, v20, v10
	v_dual_add_f32 v40, v1, v19 :: v_dual_sub_f32 v45, v12, v6
	v_dual_sub_f32 v42, v19, v1 :: v_dual_add_f32 v47, v4, v14
	v_dual_sub_f32 v46, v13, v7 :: v_dual_add_f32 v11, v28, v26
	v_add_f32_e32 v48, v5, v15
	v_dual_sub_f32 v50, v15, v5 :: v_dual_mul_f32 v51, 0xbf52af12, v34
	v_dual_add_f32 v10, v27, v25 :: v_dual_mul_f32 v87, 0xbf7e222b, v34
	v_dual_sub_f32 v24, v26, v28 :: v_dual_mul_f32 v89, 0xbf6f5d39, v34
	v_dual_add_f32 v16, v29, v16 :: v_dual_mul_f32 v91, 0xbf29c268, v34
	v_mul_f32_e32 v29, 0xbeedf032, v34
	v_dual_mul_f32 v86, 0xbf52af12, v33 :: v_dual_mul_f32 v93, 0xbf52af12, v38
	v_dual_mul_f32 v88, 0xbf7e222b, v33 :: v_dual_mul_f32 v103, 0xbf7e222b, v42
	;; [unrolled: 1-line block ×3, first 2 shown]
	v_add_f32_e32 v17, v17, v19
	v_fmamk_f32 v19, v32, 0x3f62ad3f, v30
	v_fma_f32 v30, 0x3f62ad3f, v32, -v30
	v_dual_add_f32 v44, v7, v13 :: v_dual_sub_f32 v49, v14, v4
	v_dual_sub_f32 v23, v25, v27 :: v_dual_mul_f32 v92, 0xbf29c268, v33
	v_mul_f32_e32 v123, 0xbf29c268, v50
	v_dual_mul_f32 v34, 0xbe750f2a, v34 :: v_dual_mul_f32 v109, 0xbe750f2a, v41
	v_mul_f32_e32 v33, 0xbe750f2a, v33
	v_dual_mul_f32 v94, 0xbf52af12, v37 :: v_dual_mul_f32 v107, 0xbf52af12, v42
	v_dual_mul_f32 v96, 0xbf6f5d39, v37 :: v_dual_mul_f32 v113, 0xbf6f5d39, v46
	;; [unrolled: 1-line block ×9, first 2 shown]
	v_mul_f32_e32 v42, 0xbf29c268, v42
	v_dual_mul_f32 v112, 0xbf52af12, v41 :: v_dual_mul_f32 v125, 0xbf52af12, v50
	v_dual_mul_f32 v127, 0x3eedf032, v50 :: v_dual_mul_f32 v132, 0x3eedf032, v49
	v_add_f32_e32 v16, v16, v18
	v_fma_f32 v18, 0x3f62ad3f, v31, -v29
	v_fmac_f32_e32 v29, 0x3f62ad3f, v31
	v_fma_f32 v139, 0x3f116cb1, v31, -v51
	v_dual_fmamk_f32 v140, v32, 0x3f116cb1, v86 :: v_dual_fmac_f32 v51, 0x3f116cb1, v31
	v_fma_f32 v86, 0x3f116cb1, v32, -v86
	v_fma_f32 v141, 0x3df6dbef, v31, -v87
	v_dual_fmamk_f32 v142, v32, 0x3df6dbef, v88 :: v_dual_fmac_f32 v87, 0x3df6dbef, v31
	v_fma_f32 v143, 0xbeb58ec6, v31, -v89
	v_dual_fmamk_f32 v144, v32, 0xbeb58ec6, v90 :: v_dual_fmac_f32 v89, 0xbeb58ec6, v31
	v_add_f32_e32 v30, v9, v30
	v_dual_mul_f32 v108, 0xbf7e222b, v41 :: v_dual_add_f32 v19, v9, v19
	v_mul_f32_e32 v41, 0xbf29c268, v41
	v_dual_mul_f32 v114, 0x3f29c268, v46 :: v_dual_mul_f32 v119, 0x3f29c268, v45
	v_dual_mul_f32 v115, 0x3eedf032, v46 :: v_dual_mul_f32 v120, 0x3eedf032, v45
	;; [unrolled: 1-line block ×4, first 2 shown]
	v_mul_f32_e32 v46, 0x3f52af12, v46
	v_dual_mul_f32 v118, 0xbf6f5d39, v45 :: v_dual_add_f32 v139, v8, v139
	v_mul_f32_e32 v45, 0x3f52af12, v45
	v_dual_mul_f32 v124, 0x3f7e222b, v50 :: v_dual_mul_f32 v129, 0x3f7e222b, v49
	v_dual_mul_f32 v126, 0x3e750f2a, v50 :: v_dual_mul_f32 v131, 0x3e750f2a, v49
	v_mul_f32_e32 v50, 0xbf6f5d39, v50
	v_dual_mul_f32 v128, 0xbf29c268, v49 :: v_dual_mul_f32 v137, 0xbf29c268, v24
	v_dual_mul_f32 v130, 0xbf52af12, v49 :: v_dual_add_f32 v51, v8, v51
	v_mul_f32_e32 v49, 0xbf6f5d39, v49
	v_dual_mul_f32 v134, 0xbe750f2a, v23 :: v_dual_add_f32 v29, v8, v29
	v_dual_mul_f32 v135, 0x3eedf032, v24 :: v_dual_mul_f32 v136, 0x3eedf032, v23
	v_dual_mul_f32 v138, 0xbf29c268, v23 :: v_dual_add_f32 v141, v8, v141
	v_fma_f32 v88, 0x3df6dbef, v32, -v88
	v_fma_f32 v90, 0xbeb58ec6, v32, -v90
	;; [unrolled: 1-line block ×3, first 2 shown]
	v_dual_fmamk_f32 v146, v32, 0xbf3f9e67, v92 :: v_dual_fmac_f32 v91, 0xbf3f9e67, v31
	v_fma_f32 v92, 0xbf3f9e67, v32, -v92
	v_fma_f32 v147, 0xbf788fa5, v31, -v34
	v_dual_fmac_f32 v34, 0xbf788fa5, v31 :: v_dual_fmamk_f32 v31, v32, 0xbf788fa5, v33
	v_fma_f32 v32, 0xbf788fa5, v32, -v33
	v_fma_f32 v33, 0x3f116cb1, v35, -v93
	v_dual_fmamk_f32 v148, v36, 0x3f116cb1, v94 :: v_dual_fmac_f32 v93, 0x3f116cb1, v35
	v_fma_f32 v94, 0x3f116cb1, v36, -v94
	v_fma_f32 v149, 0xbeb58ec6, v35, -v95
	v_dual_fmamk_f32 v150, v36, 0xbeb58ec6, v96 :: v_dual_fmac_f32 v95, 0xbeb58ec6, v35
	;; [unrolled: 3-line block ×5, first 2 shown]
	v_fma_f32 v102, 0x3df6dbef, v36, -v102
	v_fma_f32 v157, 0x3f62ad3f, v35, -v38
	v_dual_fmac_f32 v38, 0x3f62ad3f, v35 :: v_dual_fmamk_f32 v35, v36, 0x3f62ad3f, v37
	v_fma_f32 v36, 0x3f62ad3f, v36, -v37
	v_fma_f32 v37, 0x3df6dbef, v39, -v103
	v_dual_fmac_f32 v103, 0x3df6dbef, v39 :: v_dual_add_f32 v18, v8, v18
	v_fma_f32 v158, 0xbf788fa5, v39, -v104
	v_dual_fmac_f32 v104, 0xbf788fa5, v39 :: v_dual_fmamk_f32 v163, v40, 0xbf788fa5, v109
	v_fma_f32 v159, 0xbeb58ec6, v39, -v105
	v_dual_fmac_f32 v105, 0xbeb58ec6, v39 :: v_dual_fmamk_f32 v164, v40, 0xbeb58ec6, v110
	;; [unrolled: 2-line block ×5, first 2 shown]
	v_dual_fmamk_f32 v39, v40, 0x3df6dbef, v108 :: v_dual_add_f32 v140, v9, v140
	v_fma_f32 v108, 0x3df6dbef, v40, -v108
	v_fma_f32 v109, 0xbf788fa5, v40, -v109
	;; [unrolled: 1-line block ×7, first 2 shown]
	v_dual_fmac_f32 v113, 0xbeb58ec6, v43 :: v_dual_add_f32 v86, v9, v86
	v_fma_f32 v181, 0x3f62ad3f, v47, -v127
	v_dual_fmac_f32 v127, 0x3f62ad3f, v47 :: v_dual_add_f32 v144, v9, v144
	v_dual_add_f32 v87, v8, v87 :: v_dual_add_f32 v146, v9, v146
	v_dual_add_f32 v143, v8, v143 :: v_dual_add_f32 v92, v9, v92
	;; [unrolled: 1-line block ×3, first 2 shown]
	v_fma_f32 v168, 0xbf3f9e67, v43, -v114
	v_dual_fmac_f32 v114, 0xbf3f9e67, v43 :: v_dual_fmamk_f32 v173, v44, 0xbf3f9e67, v119
	v_fma_f32 v169, 0x3f62ad3f, v43, -v115
	v_dual_fmac_f32 v115, 0x3f62ad3f, v43 :: v_dual_fmamk_f32 v174, v44, 0x3f62ad3f, v120
	v_fma_f32 v170, 0x3df6dbef, v43, -v116
	v_dual_fmac_f32 v116, 0x3df6dbef, v43 :: v_dual_fmamk_f32 v175, v44, 0x3df6dbef, v121
	v_fma_f32 v171, 0xbf788fa5, v43, -v117
	v_dual_fmac_f32 v117, 0xbf788fa5, v43 :: v_dual_fmamk_f32 v176, v44, 0xbf788fa5, v122
	v_fma_f32 v172, 0x3f116cb1, v43, -v46
	v_dual_fmac_f32 v46, 0x3f116cb1, v43 :: v_dual_fmamk_f32 v177, v44, 0x3f116cb1, v45
	v_dual_fmamk_f32 v43, v44, 0xbeb58ec6, v118 :: v_dual_add_f32 v142, v9, v142
	v_fma_f32 v118, 0xbeb58ec6, v44, -v118
	v_fma_f32 v119, 0xbf3f9e67, v44, -v119
	;; [unrolled: 1-line block ×7, first 2 shown]
	v_dual_fmac_f32 v123, 0xbf3f9e67, v47 :: v_dual_add_f32 v88, v9, v88
	v_fma_f32 v178, 0x3df6dbef, v47, -v124
	v_dual_fmac_f32 v124, 0x3df6dbef, v47 :: v_dual_fmamk_f32 v183, v48, 0x3df6dbef, v129
	v_fma_f32 v179, 0x3f116cb1, v47, -v125
	v_dual_fmac_f32 v125, 0x3f116cb1, v47 :: v_dual_fmamk_f32 v184, v48, 0x3f116cb1, v130
	v_fma_f32 v180, 0xbf788fa5, v47, -v126
	v_dual_fmac_f32 v126, 0xbf788fa5, v47 :: v_dual_add_f32 v89, v8, v89
	v_fma_f32 v182, 0xbeb58ec6, v47, -v50
	v_dual_fmac_f32 v50, 0xbeb58ec6, v47 :: v_dual_add_f32 v145, v8, v145
	v_dual_fmamk_f32 v47, v48, 0xbf3f9e67, v128 :: v_dual_add_f32 v90, v9, v90
	v_dual_add_f32 v91, v8, v91 :: v_dual_fmamk_f32 v16, v11, 0xbf788fa5, v134
	v_dual_add_f32 v147, v8, v147 :: v_dual_add_f32 v18, v33, v18
	v_dual_add_f32 v31, v9, v31 :: v_dual_add_f32 v8, v8, v34
	v_dual_add_f32 v9, v9, v32 :: v_dual_fmamk_f32 v32, v48, 0xbf788fa5, v131
	v_fma_f32 v34, 0xbf788fa5, v48, -v131
	v_dual_fmamk_f32 v131, v48, 0x3f62ad3f, v132 :: v_dual_add_f32 v30, v94, v30
	v_dual_fmamk_f32 v185, v48, 0xbeb58ec6, v49 :: v_dual_add_f32 v94, v151, v141
	v_dual_add_f32 v12, v12, v14 :: v_dual_add_f32 v13, v13, v15
	v_fma_f32 v14, 0x3f62ad3f, v10, -v135
	v_dual_fmamk_f32 v15, v11, 0x3f62ad3f, v136 :: v_dual_add_f32 v86, v96, v86
	v_dual_fmac_f32 v135, 0x3f62ad3f, v10 :: v_dual_add_f32 v96, v153, v143
	v_dual_add_f32 v29, v93, v29 :: v_dual_add_f32 v90, v100, v90
	v_dual_add_f32 v33, v149, v139 :: v_dual_add_f32 v92, v102, v92
	;; [unrolled: 1-line block ×5, first 2 shown]
	v_fma_f32 v128, 0xbf3f9e67, v48, -v128
	v_fma_f32 v129, 0x3df6dbef, v48, -v129
	;; [unrolled: 1-line block ×6, first 2 shown]
	v_dual_fmac_f32 v133, 0xbf788fa5, v10 :: v_dual_add_f32 v88, v98, v88
	v_dual_add_f32 v19, v148, v19 :: v_dual_add_f32 v98, v155, v145
	v_dual_add_f32 v93, v150, v140 :: v_dual_add_f32 v100, v157, v147
	v_dual_add_f32 v95, v152, v142 :: v_dual_add_f32 v38, v105, v87
	v_add_f32_e32 v89, v99, v89
	v_add_f32_e32 v99, v156, v146
	v_dual_add_f32 v91, v101, v91 :: v_dual_add_f32 v12, v12, v25
	v_dual_add_f32 v9, v36, v9 :: v_dual_add_f32 v36, v159, v94
	v_add_f32_e32 v33, v158, v33
	v_dual_add_f32 v25, v104, v51 :: v_dual_add_f32 v18, v41, v18
	v_add_f32_e32 v51, v160, v96
	v_add_f32_e32 v13, v13, v26
	;; [unrolled: 1-line block ×5, first 2 shown]
	v_dual_add_f32 v31, v35, v31 :: v_dual_add_f32 v92, v112, v92
	v_dual_add_f32 v19, v39, v19 :: v_dual_add_f32 v8, v42, v8
	;; [unrolled: 1-line block ×3, first 2 shown]
	v_add_f32_e32 v39, v110, v88
	v_dual_add_f32 v87, v106, v89 :: v_dual_add_f32 v88, v111, v90
	v_dual_add_f32 v90, v166, v99 :: v_dual_add_f32 v27, v113, v29
	;; [unrolled: 1-line block ×4, first 2 shown]
	v_add_f32_e32 v89, v161, v98
	v_add_f32_e32 v37, v164, v95
	;; [unrolled: 1-line block ×4, first 2 shown]
	v_dual_add_f32 v19, v43, v19 :: v_dual_add_f32 v4, v12, v4
	v_add_f32_e32 v38, v170, v51
	v_dual_add_f32 v40, v116, v87 :: v_dual_add_f32 v93, v162, v100
	v_dual_add_f32 v42, v171, v89 :: v_dual_add_f32 v13, v13, v28
	v_add_f32_e32 v28, v118, v30
	v_dual_add_f32 v30, v173, v35 :: v_dual_add_f32 v35, v174, v37
	v_add_f32_e32 v41, v121, v88
	v_add_f32_e32 v37, v120, v39
	v_dual_add_f32 v87, v172, v93 :: v_dual_add_f32 v12, v45, v18
	v_add_f32_e32 v18, v123, v27
	v_dual_add_f32 v26, v129, v26 :: v_dual_add_f32 v27, v178, v29
	;; [unrolled: 2-line block ×4, first 2 shown]
	v_dual_add_f32 v86, v122, v92 :: v_dual_add_f32 v51, v117, v91
	v_dual_add_f32 v6, v4, v6 :: v_dual_add_f32 v31, v167, v31
	;; [unrolled: 1-line block ×4, first 2 shown]
	s_delay_alu instid0(VALU_DEP_3)
	v_dual_add_f32 v6, v6, v0 :: v_dual_add_f32 v5, v13, v5
	v_fma_f32 v17, 0xbf788fa5, v11, -v134
	v_fma_f32 v134, 0x3f62ad3f, v11, -v136
	;; [unrolled: 1-line block ×3, first 2 shown]
	v_dual_add_f32 v13, v47, v19 :: v_dual_add_f32 v0, v133, v18
	v_dual_add_f32 v32, v32, v39 :: v_dual_add_f32 v25, v114, v25
	v_fmac_f32_e32 v137, 0xbf3f9e67, v10
	v_add_f32_e32 v39, v131, v43
	v_add_f32_e32 v43, v50, v8
	v_dual_add_f32 v8, v6, v2 :: v_dual_add_f32 v5, v5, v7
	v_dual_mul_f32 v18, 0x3f52af12, v24 :: v_dual_add_f32 v31, v177, v31
	v_add_f32_e32 v44, v48, v9
	s_delay_alu instid0(VALU_DEP_3)
	v_add_f32_e32 v8, v8, v20
	v_dual_add_f32 v19, v128, v28 :: v_dual_add_f32 v2, v14, v27
	v_add_f32_e32 v28, v183, v30
	v_add_f32_e32 v30, v184, v35
	;; [unrolled: 1-line block ×5, first 2 shown]
	v_fmamk_f32 v13, v11, 0xbf3f9e67, v138
	v_fma_f32 v16, 0x3f116cb1, v10, -v18
	v_add_f32_e32 v34, v34, v41
	v_dual_add_f32 v35, v130, v37 :: v_dual_fmac_f32 v18, 0x3f116cb1, v10
	s_delay_alu instid0(VALU_DEP_4) | instskip(SKIP_4) | instid1(VALU_DEP_4)
	v_dual_add_f32 v13, v13, v30 :: v_dual_mul_f32 v30, 0x3f7e222b, v23
	v_add_f32_e32 v7, v7, v3
	v_add_f32_e32 v41, v132, v86
	;; [unrolled: 1-line block ×3, first 2 shown]
	v_dual_add_f32 v37, v126, v40 :: v_dual_add_f32 v12, v136, v29
	v_add_f32_e32 v9, v7, v21
	v_dual_add_f32 v7, v134, v26 :: v_dual_mul_f32 v26, 0xbf6f5d39, v23
	s_delay_alu instid0(VALU_DEP_3)
	v_dual_add_f32 v31, v185, v31 :: v_dual_add_f32 v18, v18, v37
	v_add_f32_e32 v3, v15, v28
	v_dual_add_f32 v6, v135, v25 :: v_dual_mul_f32 v25, 0xbf6f5d39, v24
	v_and_b32_e32 v28, 0xff, v22
	v_mul_f32_e32 v29, 0x3f7e222b, v24
	v_fma_f32 v24, 0xbeb58ec6, v11, -v26
	v_add_f32_e32 v1, v17, v19
	v_mul_f32_e32 v17, 0x3f52af12, v23
	v_fma_f32 v21, 0xbeb58ec6, v10, -v25
	v_fmamk_f32 v27, v11, 0xbeb58ec6, v26
	v_mul_lo_u16 v26, 0x4f, v28
	v_add_f32_e32 v40, v127, v51
	v_fmamk_f32 v19, v11, 0x3f116cb1, v17
	v_fma_f32 v20, 0x3f116cb1, v11, -v17
	v_dual_add_f32 v14, v137, v33 :: v_dual_fmac_f32 v25, 0xbeb58ec6, v10
	v_lshrrev_b16 v28, 10, v26
	s_delay_alu instid0(VALU_DEP_4) | instskip(NEXT) | instid1(VALU_DEP_4)
	v_add_f32_e32 v17, v19, v32
	v_add_f32_e32 v19, v20, v34
	v_dual_add_f32 v20, v21, v38 :: v_dual_add_f32 v21, v27, v39
	v_fma_f32 v27, 0x3df6dbef, v10, -v29
	v_add_f32_e32 v23, v25, v40
	v_mul_lo_u16 v32, v28, 13
	v_dual_fmac_f32 v29, 0x3df6dbef, v10 :: v_dual_fmamk_f32 v26, v11, 0x3df6dbef, v30
	s_delay_alu instid0(VALU_DEP_4) | instskip(SKIP_1) | instid1(VALU_DEP_4)
	v_add_f32_e32 v25, v27, v42
	v_mul_lo_u16 v27, v22, 13
	v_sub_nc_u16 v22, v22, v32
	s_delay_alu instid0(VALU_DEP_4)
	v_add_f32_e32 v10, v29, v43
	v_add_f32_e32 v26, v26, v31
	v_fma_f32 v15, 0xbf3f9e67, v11, -v138
	v_and_b32_e32 v27, 0xffff, v27
	v_and_b32_e32 v29, 0xff, v22
	v_fma_f32 v11, 0x3df6dbef, v11, -v30
	s_delay_alu instid0(VALU_DEP_4) | instskip(NEXT) | instid1(VALU_DEP_4)
	v_dual_add_f32 v24, v24, v41 :: v_dual_add_f32 v15, v15, v35
	v_lshlrev_b32_e32 v86, 3, v27
	ds_store_2addr_b64 v86, v[8:9], v[4:5] offset1:1
	ds_store_2addr_b64 v86, v[2:3], v[12:13] offset0:2 offset1:3
	v_mul_u32_u24_e32 v2, 12, v29
	v_add_f32_e32 v11, v11, v44
	ds_store_2addr_b64 v86, v[16:17], v[20:21] offset0:4 offset1:5
	ds_store_2addr_b64 v86, v[25:26], v[10:11] offset0:6 offset1:7
	;; [unrolled: 1-line block ×4, first 2 shown]
	ds_store_b64 v86, v[0:1] offset:96
	v_lshlrev_b32_e32 v4, 3, v2
	global_wb scope:SCOPE_SE
	s_wait_dscnt 0x0
	s_barrier_signal -1
	s_barrier_wait -1
	global_inv scope:SCOPE_SE
	s_clause 0x5
	global_load_b128 v[20:23], v4, s[10:11]
	global_load_b128 v[16:19], v4, s[10:11] offset:16
	global_load_b128 v[8:11], v4, s[10:11] offset:32
	;; [unrolled: 1-line block ×5, first 2 shown]
	ds_load_2addr_b64 v[24:27], v79 offset1:169
	ds_load_2addr_b64 v[40:43], v85 offset0:82 offset1:251
	ds_load_2addr_b64 v[87:90], v84 offset0:36 offset1:205
	;; [unrolled: 1-line block ×5, first 2 shown]
	ds_load_b64 v[48:49], v79 offset:16224
	global_wb scope:SCOPE_SE
	s_wait_loadcnt_dscnt 0x0
	s_barrier_signal -1
	s_barrier_wait -1
	global_inv scope:SCOPE_SE
	v_and_b32_e32 v28, 0xffff, v28
	s_delay_alu instid0(VALU_DEP_1)
	v_mul_u32_u24_e32 v28, 0xa9, v28
	v_mul_f32_e32 v34, v27, v21
	v_mul_f32_e32 v50, v40, v23
	;; [unrolled: 1-line block ×4, first 2 shown]
	v_dual_mul_f32 v38, v99, v15 :: v_dual_mul_f32 v103, v26, v21
	v_dual_mul_f32 v36, v48, v7 :: v_dual_mul_f32 v45, v43, v17
	v_mul_f32_e32 v112, v49, v7
	s_delay_alu instid0(VALU_DEP_3) | instskip(NEXT) | instid1(VALU_DEP_3)
	v_dual_fmac_f32 v38, v100, v14 :: v_dual_fmac_f32 v103, v27, v20
	v_fmac_f32_e32 v36, v49, v6
	v_mul_f32_e32 v35, v41, v23
	v_mul_f32_e32 v105, v90, v9
	v_fma_f32 v113, v26, v20, -v34
	v_fmac_f32_e32 v32, v90, v8
	v_sub_f32_e32 v90, v103, v36
	v_fma_f32 v51, v40, v22, -v35
	v_fma_f32 v40, v48, v6, -v112
	v_add_f32_e32 v48, v103, v36
	v_dual_mul_f32 v44, v87, v19 :: v_dual_mul_f32 v37, v101, v5
	v_fmac_f32_e32 v50, v41, v22
	v_fma_f32 v34, v89, v8, -v105
	v_dual_sub_f32 v89, v113, v40 :: v_dual_mul_f32 v30, v91, v11
	v_dual_mul_f32 v108, v96, v3 :: v_dual_mul_f32 v39, v97, v13
	v_mul_f32_e32 v110, v100, v15
	v_fma_f32 v47, v42, v16, -v45
	v_fma_f32 v45, v87, v18, -v104
	v_dual_fmac_f32 v44, v88, v18 :: v_dual_fmac_f32 v37, v102, v4
	v_mul_f32_e32 v104, 0xbeedf032, v89
	v_add_f32_e32 v88, v25, v103
	v_mul_f32_e32 v46, v42, v17
	v_mul_f32_e32 v106, v92, v11
	v_fmac_f32_e32 v30, v92, v10
	v_fma_f32 v35, v95, v2, -v108
	v_fma_f32 v42, v99, v14, -v110
	v_dual_mul_f32 v110, 0xbf6f5d39, v89 :: v_dual_mul_f32 v33, v95, v3
	v_sub_f32_e32 v92, v50, v37
	v_dual_add_f32 v95, v50, v37 :: v_dual_add_f32 v50, v88, v50
	v_dual_fmac_f32 v39, v98, v12 :: v_dual_mul_f32 v108, 0xbf7e222b, v89
	v_mul_f32_e32 v109, v98, v13
	v_dual_mul_f32 v111, v102, v5 :: v_dual_fmac_f32 v46, v43, v16
	s_delay_alu instid0(VALU_DEP_3) | instskip(SKIP_2) | instid1(VALU_DEP_4)
	v_dual_add_f32 v102, v44, v39 :: v_dual_mul_f32 v31, v93, v1
	v_fma_f32 v26, v91, v10, -v106
	v_dual_fmac_f32 v33, v96, v2 :: v_dual_mul_f32 v106, 0xbf52af12, v89
	v_fma_f32 v41, v101, v4, -v111
	v_sub_f32_e32 v100, v44, v39
	v_fma_f32 v43, v97, v12, -v109
	v_dual_mul_f32 v107, v94, v1 :: v_dual_sub_f32 v98, v47, v42
	v_dual_add_f32 v87, v24, v113 :: v_dual_mul_f32 v116, 0x3f29c268, v92
	v_dual_add_f32 v49, v113, v40 :: v_dual_mul_f32 v112, 0xbf29c268, v89
	v_sub_f32_e32 v96, v46, v38
	v_dual_fmac_f32 v31, v94, v0 :: v_dual_sub_f32 v94, v51, v41
	v_dual_sub_f32 v101, v45, v43 :: v_dual_fmamk_f32 v142, v48, 0x3f62ad3f, v104
	v_fma_f32 v104, 0x3f62ad3f, v48, -v104
	v_mul_f32_e32 v103, 0xbeedf032, v90
	v_fmamk_f32 v144, v48, 0x3f116cb1, v106
	v_mul_f32_e32 v105, 0xbf52af12, v90
	v_fma_f32 v27, v93, v0, -v107
	v_add_f32_e32 v93, v51, v41
	v_dual_add_f32 v91, v45, v43 :: v_dual_mul_f32 v118, 0xbe750f2a, v94
	v_mul_f32_e32 v111, 0xbf29c268, v90
	v_mul_f32_e32 v89, 0xbe750f2a, v89
	v_dual_mul_f32 v113, 0xbf52af12, v92 :: v_dual_mul_f32 v130, 0xbf52af12, v98
	v_dual_mul_f32 v114, 0xbf6f5d39, v92 :: v_dual_add_f32 v51, v87, v51
	v_mul_f32_e32 v120, 0x3f7e222b, v94
	v_dual_mul_f32 v107, 0xbf7e222b, v90 :: v_dual_mul_f32 v138, 0xbf7e222b, v101
	v_dual_mul_f32 v109, 0xbf6f5d39, v90 :: v_dual_mul_f32 v132, 0xbf6f5d39, v101
	v_mul_f32_e32 v90, 0xbe750f2a, v90
	v_dual_mul_f32 v119, 0x3f29c268, v94 :: v_dual_mul_f32 v134, 0x3f29c268, v101
	v_dual_mul_f32 v129, 0x3eedf032, v98 :: v_dual_mul_f32 v136, 0x3eedf032, v101
	;; [unrolled: 1-line block ×3, first 2 shown]
	v_fma_f32 v106, 0x3f116cb1, v48, -v106
	v_mul_f32_e32 v117, 0x3f7e222b, v92
	v_fmamk_f32 v146, v48, 0x3df6dbef, v108
	v_fma_f32 v108, 0x3df6dbef, v48, -v108
	v_mul_f32_e32 v87, 0xbf52af12, v94
	v_fmamk_f32 v148, v48, 0xbeb58ec6, v110
	v_fma_f32 v110, 0xbeb58ec6, v48, -v110
	v_add_f32_e32 v104, v25, v104
	v_fma_f32 v141, 0x3f62ad3f, v49, -v103
	v_fmac_f32_e32 v103, 0x3f62ad3f, v49
	v_dual_mul_f32 v115, 0xbe750f2a, v92 :: v_dual_add_f32 v142, v25, v142
	v_mul_f32_e32 v92, 0x3eedf032, v92
	v_add_f32_e32 v144, v25, v144
	v_fma_f32 v143, 0x3f116cb1, v49, -v105
	v_dual_add_f32 v97, v47, v42 :: v_dual_mul_f32 v122, 0xbe750f2a, v96
	v_dual_add_f32 v99, v46, v38 :: v_dual_mul_f32 v124, 0x3eedf032, v96
	v_mul_f32_e32 v88, 0xbf6f5d39, v94
	v_mul_f32_e32 v94, 0x3eedf032, v94
	v_dual_mul_f32 v121, 0xbf7e222b, v96 :: v_dual_mul_f32 v126, 0xbf7e222b, v98
	v_dual_mul_f32 v123, 0x3f6f5d39, v96 :: v_dual_mul_f32 v128, 0x3f6f5d39, v98
	v_dual_mul_f32 v131, 0xbf6f5d39, v100 :: v_dual_add_f32 v110, v25, v110
	v_fmac_f32_e32 v105, 0x3f116cb1, v49
	v_fma_f32 v145, 0x3df6dbef, v49, -v107
	v_fmac_f32_e32 v107, 0x3df6dbef, v49
	v_dual_mul_f32 v125, 0xbf52af12, v96 :: v_dual_add_f32 v146, v25, v146
	v_mul_f32_e32 v96, 0xbf29c268, v96
	v_fma_f32 v147, 0xbeb58ec6, v49, -v109
	v_fmac_f32_e32 v109, 0xbeb58ec6, v49
	v_dual_mul_f32 v127, 0xbe750f2a, v98 :: v_dual_add_f32 v148, v25, v148
	v_dual_mul_f32 v98, 0xbf29c268, v98 :: v_dual_add_f32 v47, v51, v47
	v_fma_f32 v149, 0xbf3f9e67, v49, -v111
	v_dual_fmamk_f32 v150, v48, 0xbf3f9e67, v112 :: v_dual_fmac_f32 v111, 0xbf3f9e67, v49
	v_fma_f32 v112, 0xbf3f9e67, v48, -v112
	v_fma_f32 v151, 0xbf788fa5, v49, -v90
	;; [unrolled: 1-line block ×3, first 2 shown]
	v_fmac_f32_e32 v114, 0xbeb58ec6, v93
	v_fma_f32 v153, 0xbf788fa5, v93, -v115
	v_dual_fmac_f32 v115, 0xbf788fa5, v93 :: v_dual_fmamk_f32 v158, v95, 0xbf788fa5, v118
	v_fma_f32 v154, 0xbf3f9e67, v93, -v116
	v_dual_fmac_f32 v116, 0xbf3f9e67, v93 :: v_dual_fmamk_f32 v159, v95, 0xbf3f9e67, v119
	;; [unrolled: 2-line block ×3, first 2 shown]
	v_fma_f32 v119, 0xbf3f9e67, v95, -v119
	v_add_f32_e32 v46, v50, v46
	v_dual_fmac_f32 v90, 0xbf788fa5, v49 :: v_dual_fmamk_f32 v49, v48, 0xbf788fa5, v89
	v_fma_f32 v48, 0xbf788fa5, v48, -v89
	v_fma_f32 v89, 0x3f116cb1, v93, -v113
	v_dual_fmac_f32 v113, 0x3f116cb1, v93 :: v_dual_fmamk_f32 v168, v99, 0x3f116cb1, v130
	v_dual_fmamk_f32 v172, v102, 0xbf3f9e67, v134 :: v_dual_add_f32 v141, v24, v141
	v_dual_fmamk_f32 v174, v102, 0x3f62ad3f, v136 :: v_dual_add_f32 v103, v24, v103
	v_dual_fmamk_f32 v178, v102, 0xbf788fa5, v140 :: v_dual_add_f32 v143, v24, v143
	v_add_f32_e32 v106, v25, v106
	v_fma_f32 v155, 0x3df6dbef, v93, -v117
	v_dual_fmac_f32 v117, 0x3df6dbef, v93 :: v_dual_fmamk_f32 v160, v95, 0x3df6dbef, v120
	v_dual_add_f32 v108, v25, v108 :: v_dual_fmamk_f32 v93, v95, 0x3f116cb1, v87
	v_add_f32_e32 v112, v25, v112
	v_fma_f32 v87, 0x3f116cb1, v95, -v87
	v_dual_mul_f32 v133, 0x3f29c268, v100 :: v_dual_add_f32 v150, v25, v150
	v_mul_f32_e32 v135, 0x3eedf032, v100
	v_mul_f32_e32 v137, 0xbf7e222b, v100
	v_dual_fmamk_f32 v157, v95, 0xbeb58ec6, v88 :: v_dual_add_f32 v44, v46, v44
	v_fma_f32 v88, 0xbeb58ec6, v95, -v88
	v_fma_f32 v118, 0xbf788fa5, v95, -v118
	;; [unrolled: 1-line block ×3, first 2 shown]
	v_fmamk_f32 v161, v95, 0x3f62ad3f, v94
	v_fma_f32 v94, 0x3f62ad3f, v95, -v94
	v_fma_f32 v95, 0x3df6dbef, v97, -v121
	v_dual_fmac_f32 v121, 0x3df6dbef, v97 :: v_dual_fmamk_f32 v50, v99, 0x3df6dbef, v126
	v_fma_f32 v162, 0xbf788fa5, v97, -v122
	v_fmac_f32_e32 v122, 0xbf788fa5, v97
	v_fma_f32 v163, 0xbeb58ec6, v97, -v123
	v_dual_fmac_f32 v123, 0xbeb58ec6, v97 :: v_dual_fmamk_f32 v170, v102, 0xbeb58ec6, v132
	v_fma_f32 v164, 0x3f62ad3f, v97, -v124
	v_fma_f32 v165, 0x3f116cb1, v97, -v125
	v_fmac_f32_e32 v125, 0x3f116cb1, v97
	v_fma_f32 v166, 0xbf3f9e67, v97, -v96
	v_fmac_f32_e32 v96, 0xbf3f9e67, v97
	v_fma_f32 v51, 0x3df6dbef, v99, -v126
	v_fma_f32 v126, 0xbf788fa5, v99, -v127
	;; [unrolled: 1-line block ×3, first 2 shown]
	v_fmamk_f32 v169, v99, 0xbf3f9e67, v98
	v_add_f32_e32 v105, v24, v105
	v_add_f32_e32 v145, v24, v145
	v_dual_add_f32 v107, v24, v107 :: v_dual_add_f32 v110, v119, v110
	v_add_f32_e32 v111, v24, v111
	v_add_f32_e32 v49, v25, v49
	;; [unrolled: 1-line block ×3, first 2 shown]
	v_dual_add_f32 v45, v47, v45 :: v_dual_add_f32 v112, v120, v112
	v_dual_add_f32 v46, v89, v141 :: v_dual_add_f32 v147, v24, v147
	v_dual_add_f32 v48, v113, v103 :: v_dual_add_f32 v109, v24, v109
	v_add_f32_e32 v87, v87, v104
	v_add_f32_e32 v149, v24, v149
	v_dual_add_f32 v89, v152, v143 :: v_dual_add_f32 v104, v158, v146
	v_add_f32_e32 v151, v24, v151
	v_add_f32_e32 v24, v24, v90
	v_fmac_f32_e32 v124, 0x3f62ad3f, v97
	v_fmamk_f32 v97, v99, 0xbf788fa5, v127
	v_dual_fmamk_f32 v127, v99, 0xbeb58ec6, v128 :: v_dual_add_f32 v88, v88, v106
	s_delay_alu instid0(VALU_DEP_4) | instskip(SKIP_1) | instid1(VALU_DEP_3)
	v_dual_add_f32 v47, v93, v142 :: v_dual_add_f32 v24, v92, v24
	v_fma_f32 v171, 0xbf3f9e67, v91, -v133
	v_add_f32_e32 v92, v127, v104
	s_delay_alu instid0(VALU_DEP_3)
	v_dual_add_f32 v104, v129, v110 :: v_dual_add_f32 v47, v50, v47
	v_dual_add_f32 v50, v51, v87 :: v_dual_add_f32 v51, v162, v89
	v_add_f32_e32 v45, v45, v34
	v_fma_f32 v128, 0xbeb58ec6, v99, -v128
	v_fma_f32 v130, 0x3f116cb1, v99, -v130
	v_fma_f32 v98, 0xbf3f9e67, v99, -v98
	v_fma_f32 v99, 0xbeb58ec6, v91, -v131
	v_fmac_f32_e32 v131, 0xbeb58ec6, v91
	v_dual_fmac_f32 v133, 0xbf3f9e67, v91 :: v_dual_add_f32 v106, v118, v108
	v_dual_add_f32 v93, v114, v105 :: v_dual_add_f32 v44, v44, v32
	v_add_f32_e32 v105, v115, v107
	v_dual_add_f32 v46, v95, v46 :: v_dual_add_f32 v107, v154, v147
	v_add_f32_e32 v96, v96, v24
	;; [unrolled: 2-line block ×4, first 2 shown]
	v_add_f32_e32 v108, v159, v148
	s_delay_alu instid0(VALU_DEP_4) | instskip(SKIP_3) | instid1(VALU_DEP_4)
	v_dual_add_f32 v24, v24, v27 :: v_dual_add_f32 v103, v153, v145
	v_fma_f32 v132, 0xbeb58ec6, v102, -v132
	v_fma_f32 v134, 0xbf3f9e67, v102, -v134
	v_dual_add_f32 v113, v155, v149 :: v_dual_add_f32 v44, v44, v30
	v_dual_add_f32 v24, v24, v35 :: v_dual_add_f32 v89, v122, v93
	;; [unrolled: 1-line block ×4, first 2 shown]
	s_delay_alu instid0(VALU_DEP_3) | instskip(SKIP_3) | instid1(VALU_DEP_4)
	v_add_f32_e32 v24, v24, v43
	v_fma_f32 v136, 0x3f62ad3f, v102, -v136
	v_fma_f32 v177, 0xbf788fa5, v91, -v139
	v_add_f32_e32 v115, v156, v151
	v_dual_add_f32 v45, v98, v25 :: v_dual_add_f32 v24, v24, v42
	v_add_f32_e32 v97, v167, v108
	v_dual_add_f32 v108, v130, v112 :: v_dual_add_f32 v25, v44, v31
	v_dual_add_f32 v47, v170, v47 :: v_dual_sub_f32 v98, v32, v33
	v_add_f32_e32 v32, v32, v33
	s_delay_alu instid0(VALU_DEP_3)
	v_dual_add_f32 v94, v128, v106 :: v_dual_add_f32 v25, v25, v33
	v_add_f32_e32 v93, v123, v105
	v_add_f32_e32 v44, v131, v48
	;; [unrolled: 1-line block ×4, first 2 shown]
	v_dual_add_f32 v25, v25, v39 :: v_dual_add_f32 v24, v24, v41
	v_add_f32_e32 v105, v165, v113
	v_fma_f32 v173, 0x3f62ad3f, v91, -v135
	v_fmac_f32_e32 v135, 0x3f62ad3f, v91
	s_delay_alu instid0(VALU_DEP_4) | instskip(SKIP_3) | instid1(VALU_DEP_4)
	v_add_f32_e32 v25, v25, v38
	v_fma_f32 v175, 0x3df6dbef, v91, -v137
	v_dual_fmamk_f32 v176, v102, 0x3df6dbef, v138 :: v_dual_fmac_f32 v137, 0x3df6dbef, v91
	v_dual_add_f32 v111, v117, v111 :: v_dual_add_f32 v46, v99, v46
	v_dual_add_f32 v25, v25, v37 :: v_dual_add_f32 v88, v134, v88
	v_add_f32_e32 v51, v172, v87
	v_add_f32_e32 v87, v133, v89
	;; [unrolled: 1-line block ×4, first 2 shown]
	v_dual_add_f32 v95, v164, v107 :: v_dual_add_f32 v92, v177, v105
	v_add_f32_e32 v103, v124, v109
	v_add_f32_e32 v109, v166, v115
	;; [unrolled: 1-line block ×3, first 2 shown]
	v_dual_mul_f32 v36, 0x3f52af12, v100 :: v_dual_add_f32 v107, v125, v111
	v_dual_add_f32 v38, v136, v94 :: v_dual_add_f32 v89, v135, v93
	v_add_f32_e32 v42, v175, v95
	s_delay_alu instid0(VALU_DEP_3)
	v_fma_f32 v95, 0x3f116cb1, v91, -v36
	v_add_f32_e32 v100, v34, v35
	v_sub_f32_e32 v34, v34, v35
	v_dual_fmac_f32 v36, 0x3f116cb1, v91 :: v_dual_add_f32 v39, v173, v90
	v_add_f32_e32 v90, v176, v97
	v_mul_f32_e32 v93, 0x3f52af12, v101
	v_mul_f32_e32 v101, 0xbf29c268, v98
	v_fmac_f32_e32 v139, 0xbf788fa5, v91
	v_fma_f32 v94, 0xbf788fa5, v102, -v140
	v_mul_f32_e32 v33, 0xbf29c268, v34
	v_fma_f32 v35, 0x3f116cb1, v102, -v93
	v_fma_f32 v91, 0xbf3f9e67, v100, -v101
	v_add_f32_e32 v37, v137, v103
	v_fmamk_f32 v99, v102, 0x3f116cb1, v93
	s_delay_alu instid0(VALU_DEP_4) | instskip(NEXT) | instid1(VALU_DEP_4)
	v_dual_add_f32 v94, v94, v108 :: v_dual_add_f32 v35, v35, v45
	v_add_f32_e32 v45, v91, v46
	v_mul_f32_e32 v46, 0x3f7e222b, v98
	v_fmamk_f32 v91, v32, 0xbf3f9e67, v33
	v_fma_f32 v33, 0xbf3f9e67, v32, -v33
	v_mul_f32_e32 v93, 0x3f7e222b, v34
	v_fma_f32 v138, 0x3df6dbef, v102, -v138
	v_add_f32_e32 v36, v36, v96
	v_fma_f32 v96, 0x3df6dbef, v100, -v46
	v_add_f32_e32 v47, v91, v47
	v_dual_add_f32 v33, v33, v48 :: v_dual_fmamk_f32 v48, v32, 0x3df6dbef, v93
	v_mul_f32_e32 v91, 0xbf52af12, v98
	v_fmac_f32_e32 v46, 0x3df6dbef, v100
	v_fma_f32 v93, 0x3df6dbef, v32, -v93
	s_delay_alu instid0(VALU_DEP_4)
	v_dual_add_f32 v41, v138, v104 :: v_dual_add_f32 v48, v48, v51
	v_add_f32_e32 v50, v96, v50
	v_mul_f32_e32 v51, 0xbf52af12, v34
	v_fma_f32 v96, 0x3f116cb1, v100, -v91
	v_dual_add_f32 v46, v46, v87 :: v_dual_add_f32 v87, v93, v88
	v_mul_f32_e32 v88, 0x3e750f2a, v98
	s_delay_alu instid0(VALU_DEP_4) | instskip(NEXT) | instid1(VALU_DEP_4)
	v_fmamk_f32 v93, v32, 0x3f116cb1, v51
	v_add_f32_e32 v39, v96, v39
	v_fma_f32 v51, 0x3f116cb1, v32, -v51
	v_add_f32_e32 v106, v168, v114
	v_fma_f32 v96, 0xbf788fa5, v100, -v88
	v_add_f32_e32 v49, v169, v49
	v_dual_add_f32 v95, v95, v109 :: v_dual_fmac_f32 v88, 0xbf788fa5, v100
	v_add_f32_e32 v51, v51, v38
	s_delay_alu instid0(VALU_DEP_4) | instskip(SKIP_4) | instid1(VALU_DEP_4)
	v_dual_add_f32 v42, v96, v42 :: v_dual_add_f32 v97, v139, v107
	v_mul_f32_e32 v38, 0x3eedf032, v98
	v_add_f32_e32 v40, v178, v106
	v_add_f32_e32 v88, v88, v37
	v_dual_add_f32 v49, v99, v49 :: v_dual_mul_f32 v96, 0x3eedf032, v34
	v_fma_f32 v99, 0x3f62ad3f, v100, -v38
	v_fmac_f32_e32 v91, 0x3f116cb1, v100
	v_add_f32_e32 v43, v93, v43
	v_mul_f32_e32 v93, 0x3e750f2a, v34
	s_delay_alu instid0(VALU_DEP_4) | instskip(SKIP_3) | instid1(VALU_DEP_3)
	v_dual_fmamk_f32 v37, v32, 0x3f62ad3f, v96 :: v_dual_add_f32 v92, v99, v92
	v_fmac_f32_e32 v101, 0xbf3f9e67, v100
	v_fmac_f32_e32 v38, 0x3f62ad3f, v100
	v_mul_f32_e32 v34, 0xbf6f5d39, v34
	v_dual_add_f32 v44, v101, v44 :: v_dual_add_f32 v89, v91, v89
	v_fmamk_f32 v91, v32, 0xbf788fa5, v93
	v_fma_f32 v93, 0xbf788fa5, v32, -v93
	s_delay_alu instid0(VALU_DEP_1)
	v_dual_add_f32 v90, v91, v90 :: v_dual_add_f32 v91, v93, v41
	v_add_f32_e32 v93, v37, v40
	v_fma_f32 v37, 0x3f62ad3f, v32, -v96
	v_add_f32_e32 v96, v38, v97
	v_sub_f32_e32 v97, v30, v31
	v_mul_f32_e32 v41, 0xbf6f5d39, v98
	v_fmamk_f32 v38, v32, 0xbeb58ec6, v34
	v_add_f32_e32 v98, v26, v27
	v_sub_f32_e32 v99, v26, v27
	v_fma_f32 v26, 0xbeb58ec6, v32, -v34
	v_mul_f32_e32 v34, 0x3eedf032, v97
	v_dual_add_f32 v94, v37, v94 :: v_dual_mul_f32 v37, 0xbe750f2a, v97
	s_delay_alu instid0(VALU_DEP_3) | instskip(NEXT) | instid1(VALU_DEP_3)
	v_add_f32_e32 v102, v26, v35
	v_fma_f32 v32, 0x3f62ad3f, v98, -v34
	v_fmac_f32_e32 v34, 0x3f62ad3f, v98
	s_delay_alu instid0(VALU_DEP_4) | instskip(NEXT) | instid1(VALU_DEP_3)
	v_fma_f32 v27, 0xbf788fa5, v98, -v37
	v_add_f32_e32 v32, v32, v50
	s_delay_alu instid0(VALU_DEP_3) | instskip(SKIP_4) | instid1(VALU_DEP_2)
	v_add_f32_e32 v34, v34, v46
	v_mul_f32_e32 v46, 0xbf6f5d39, v97
	v_fma_f32 v40, 0xbeb58ec6, v100, -v41
	v_dual_fmac_f32 v41, 0xbeb58ec6, v100 :: v_dual_add_f32 v100, v30, v31
	v_mul_f32_e32 v30, 0xbe750f2a, v99
	v_dual_add_f32 v26, v27, v45 :: v_dual_add_f32 v101, v41, v36
	v_fmac_f32_e32 v37, 0xbf788fa5, v98
	s_delay_alu instid0(VALU_DEP_3) | instskip(SKIP_1) | instid1(VALU_DEP_2)
	v_fmamk_f32 v27, v100, 0xbf788fa5, v30
	v_fma_f32 v31, 0xbf788fa5, v100, -v30
	v_dual_add_f32 v30, v37, v44 :: v_dual_add_f32 v27, v27, v47
	v_mul_f32_e32 v44, 0x3f52af12, v97
	v_fma_f32 v47, 0xbeb58ec6, v98, -v46
	v_fmac_f32_e32 v46, 0xbeb58ec6, v98
	v_mul_f32_e32 v35, 0x3eedf032, v99
	v_add_f32_e32 v31, v31, v33
	v_mul_f32_e32 v37, 0xbf29c268, v99
	v_fma_f32 v41, 0x3f116cb1, v98, -v44
	v_fmac_f32_e32 v44, 0x3f116cb1, v98
	v_fmamk_f32 v33, v100, 0x3f62ad3f, v35
	v_mul_f32_e32 v45, 0xbf6f5d39, v99
	v_add_f32_e32 v49, v38, v49
	v_dual_mul_f32 v38, 0xbf29c268, v97 :: v_dual_add_f32 v95, v40, v95
	v_fmamk_f32 v40, v100, 0xbf3f9e67, v37
	v_dual_mul_f32 v50, 0x3f7e222b, v97 :: v_dual_add_f32 v33, v33, v48
	s_delay_alu instid0(VALU_DEP_3)
	v_fma_f32 v36, 0xbf3f9e67, v98, -v38
	v_fmamk_f32 v48, v100, 0xbeb58ec6, v45
	v_fma_f32 v35, 0x3f62ad3f, v100, -v35
	v_fmac_f32_e32 v38, 0xbf3f9e67, v98
	v_add_f32_e32 v46, v46, v96
	v_add_f32_e32 v36, v36, v39
	v_fma_f32 v39, 0xbf3f9e67, v100, -v37
	v_dual_add_f32 v37, v40, v43 :: v_dual_add_f32 v40, v41, v42
	v_add_f32_e32 v42, v44, v88
	v_add_f32_e32 v44, v47, v92
	v_fma_f32 v47, 0xbeb58ec6, v100, -v45
	v_dual_add_f32 v45, v48, v93 :: v_dual_mul_f32 v48, 0x3f7e222b, v99
	v_mul_f32_e32 v43, 0x3f52af12, v99
	v_add_f32_e32 v35, v35, v87
	v_add_f32_e32 v39, v39, v51
	v_fma_f32 v51, 0x3df6dbef, v98, -v50
	v_fmamk_f32 v87, v100, 0x3df6dbef, v48
	v_fmamk_f32 v41, v100, 0x3f116cb1, v43
	v_fma_f32 v43, 0x3f116cb1, v100, -v43
	v_fmac_f32_e32 v50, 0x3df6dbef, v98
	v_fma_f32 v88, 0x3df6dbef, v100, -v48
	v_add_f32_e32 v49, v87, v49
	v_add_lshl_u32 v87, v28, v29, 3
	v_mad_co_u64_u32 v[28:29], null, 0x60, v80, s[10:11]
	v_add_f32_e32 v43, v43, v91
	v_dual_add_f32 v47, v47, v94 :: v_dual_add_f32 v38, v38, v89
	v_dual_add_f32 v41, v41, v90 :: v_dual_add_f32 v48, v51, v95
	v_dual_add_f32 v50, v50, v101 :: v_dual_add_f32 v51, v88, v102
	ds_store_2addr_b64 v87, v[24:25], v[26:27] offset1:13
	ds_store_2addr_b64 v87, v[32:33], v[36:37] offset0:26 offset1:39
	ds_store_2addr_b64 v87, v[40:41], v[44:45] offset0:52 offset1:65
	;; [unrolled: 1-line block ×5, first 2 shown]
	ds_store_b64 v87, v[30:31] offset:1248
	global_wb scope:SCOPE_SE
	s_wait_dscnt 0x0
	s_barrier_signal -1
	s_barrier_wait -1
	global_inv scope:SCOPE_SE
	s_clause 0x5
	global_load_b128 v[44:47], v[28:29], off offset:1248
	global_load_b128 v[40:43], v[28:29], off offset:1264
	;; [unrolled: 1-line block ×6, first 2 shown]
	ds_load_2addr_b64 v[88:91], v85 offset0:82 offset1:251
	ds_load_2addr_b64 v[105:108], v84 offset0:36 offset1:205
	ds_load_2addr_b64 v[109:112], v83 offset0:54 offset1:223
	ds_load_2addr_b64 v[128:131], v82 offset0:72 offset1:241
	ds_load_2addr_b64 v[132:135], v81 offset0:26 offset1:195
	ds_load_2addr_b64 v[48:51], v79 offset1:169
	ds_load_b64 v[92:93], v79 offset:16224
	s_wait_loadcnt_dscnt 0x506
	v_mul_f32_e32 v94, v89, v47
	s_wait_loadcnt_dscnt 0x405
	v_mul_f32_e32 v104, v105, v43
	s_wait_loadcnt 0x3
	v_mul_f32_e32 v114, v108, v33
	v_mul_f32_e32 v96, v91, v41
	s_wait_loadcnt_dscnt 0x103
	v_mul_f32_e32 v98, v130, v37
	s_wait_loadcnt_dscnt 0x2
	v_dual_mul_f32 v125, v135, v29 :: v_dual_fmac_f32 v104, v106, v42
	s_wait_dscnt 0x1
	v_mul_f32_e32 v136, v51, v45
	v_fma_f32 v127, v88, v46, -v94
	v_dual_fmac_f32 v98, v131, v36 :: v_dual_mul_f32 v117, v110, v35
	s_wait_dscnt 0x0
	v_mul_f32_e32 v137, v93, v31
	v_fma_f32 v116, v107, v32, -v114
	v_mul_f32_e32 v100, v111, v25
	v_mul_f32_e32 v124, v133, v39
	v_fma_f32 v114, v109, v34, -v117
	v_fma_f32 v117, v134, v28, -v125
	v_mul_f32_e32 v113, v106, v43
	v_mul_f32_e32 v126, v50, v45
	v_fma_f32 v122, v90, v40, -v96
	v_fma_f32 v50, v50, v44, -v136
	v_mul_f32_e32 v103, v109, v35
	v_fma_f32 v118, v105, v42, -v113
	v_dual_mul_f32 v121, v131, v37 :: v_dual_add_f32 v96, v104, v98
	v_fma_f32 v109, v92, v30, -v137
	v_mul_f32_e32 v115, v90, v41
	v_mul_f32_e32 v102, v107, v33
	v_fmac_f32_e32 v100, v112, v24
	v_fma_f32 v107, v130, v36, -v121
	v_fma_f32 v105, v132, v38, -v124
	v_dual_mul_f32 v101, v128, v27 :: v_dual_sub_f32 v130, v50, v109
	v_fmac_f32_e32 v103, v110, v34
	v_mul_f32_e32 v97, v92, v31
	v_dual_mul_f32 v123, v88, v47 :: v_dual_fmac_f32 v126, v51, v44
	v_fmac_f32_e32 v102, v108, v32
	v_dual_add_f32 v90, v122, v105 :: v_dual_fmac_f32 v101, v129, v26
	v_mul_f32_e32 v99, v132, v39
	v_fmac_f32_e32 v97, v93, v30
	v_dual_add_f32 v132, v48, v50 :: v_dual_fmac_f32 v115, v91, v40
	v_dual_mul_f32 v95, v134, v29 :: v_dual_mul_f32 v120, v129, v27
	v_fmac_f32_e32 v123, v89, v46
	s_delay_alu instid0(VALU_DEP_4) | instskip(NEXT) | instid1(VALU_DEP_3)
	v_dual_sub_f32 v129, v126, v97 :: v_dual_mul_f32 v142, 0xbf6f5d39, v130
	v_dual_fmac_f32 v95, v135, v28 :: v_dual_mul_f32 v140, 0xbf52af12, v130
	v_mul_f32_e32 v119, v112, v25
	s_delay_alu instid0(VALU_DEP_3) | instskip(SKIP_1) | instid1(VALU_DEP_4)
	v_mul_f32_e32 v134, 0xbeedf032, v129
	v_add_f32_e32 v124, v103, v100
	v_sub_f32_e32 v88, v123, v95
	v_add_f32_e32 v112, v102, v101
	v_fma_f32 v113, v111, v24, -v119
	v_fma_f32 v111, v128, v26, -v120
	v_dual_fmac_f32 v99, v133, v38 :: v_dual_mul_f32 v138, 0xbf29c268, v129
	v_add_f32_e32 v128, v50, v109
	v_add_f32_e32 v50, v127, v117
	s_delay_alu instid0(VALU_DEP_4) | instskip(NEXT) | instid1(VALU_DEP_4)
	v_sub_f32_e32 v120, v116, v111
	v_sub_f32_e32 v92, v115, v99
	;; [unrolled: 1-line block ×3, first 2 shown]
	v_add_f32_e32 v121, v114, v113
	v_mul_f32_e32 v136, 0xbf7e222b, v129
	v_add_f32_e32 v131, v126, v97
	v_mul_f32_e32 v137, 0xbf6f5d39, v129
	v_add_f32_e32 v127, v132, v127
	v_fma_f32 v153, 0x3f62ad3f, v128, -v134
	v_fmac_f32_e32 v134, 0x3f62ad3f, v128
	v_fma_f32 v157, 0xbf3f9e67, v128, -v138
	v_fmac_f32_e32 v138, 0xbf3f9e67, v128
	v_mul_f32_e32 v135, 0xbf52af12, v129
	s_delay_alu instid0(VALU_DEP_4)
	v_dual_mul_f32 v129, 0xbe750f2a, v129 :: v_dual_add_f32 v134, v48, v134
	v_dual_add_f32 v133, v49, v126 :: v_dual_mul_f32 v144, 0xbf52af12, v88
	v_sub_f32_e32 v106, v104, v98
	v_dual_sub_f32 v126, v103, v100 :: v_dual_sub_f32 v125, v114, v113
	v_mul_f32_e32 v139, 0xbeedf032, v130
	v_mul_f32_e32 v141, 0xbf7e222b, v130
	v_fma_f32 v155, 0x3df6dbef, v128, -v136
	v_fmac_f32_e32 v136, 0x3df6dbef, v128
	v_mul_f32_e32 v143, 0xbf29c268, v130
	v_mul_f32_e32 v130, 0xbe750f2a, v130
	v_fma_f32 v158, 0xbf788fa5, v128, -v129
	v_fmamk_f32 v159, v131, 0x3f116cb1, v140
	v_fma_f32 v140, 0x3f116cb1, v131, -v140
	v_dual_add_f32 v91, v115, v99 :: v_dual_mul_f32 v150, 0xbe750f2a, v126
	v_add_f32_e32 v94, v118, v107
	v_sub_f32_e32 v108, v118, v107
	v_dual_sub_f32 v119, v102, v101 :: v_dual_mul_f32 v152, 0xbf6f5d39, v88
	v_dual_sub_f32 v93, v122, v105 :: v_dual_add_f32 v110, v116, v111
	v_dual_add_f32 v51, v123, v95 :: v_dual_mul_f32 v146, 0xbf6f5d39, v106
	v_fma_f32 v156, 0xbeb58ec6, v128, -v137
	v_fmac_f32_e32 v137, 0xbeb58ec6, v128
	v_fmac_f32_e32 v129, 0xbf788fa5, v128
	v_dual_fmamk_f32 v160, v131, 0x3df6dbef, v141 :: v_dual_add_f32 v153, v48, v153
	v_add_f32_e32 v122, v127, v122
	v_fma_f32 v154, 0x3f116cb1, v128, -v135
	v_fmac_f32_e32 v135, 0x3f116cb1, v128
	v_add_f32_e32 v140, v49, v140
	v_dual_add_f32 v123, v133, v123 :: v_dual_fmamk_f32 v128, v131, 0x3f62ad3f, v139
	v_fma_f32 v139, 0x3f62ad3f, v131, -v139
	v_mul_f32_e32 v132, 0xbf7e222b, v92
	v_dual_mul_f32 v145, 0xbf52af12, v89 :: v_dual_add_f32 v154, v48, v154
	v_mul_f32_e32 v148, 0xbf29c268, v119
	v_dual_mul_f32 v133, 0xbf7e222b, v93 :: v_dual_add_f32 v156, v48, v156
	v_dual_mul_f32 v151, 0xbe750f2a, v125 :: v_dual_add_f32 v138, v48, v138
	v_fmamk_f32 v161, v131, 0xbeb58ec6, v142
	v_fma_f32 v142, 0xbeb58ec6, v131, -v142
	v_mul_f32_e32 v147, 0xbf6f5d39, v108
	s_delay_alu instid0(VALU_DEP_4)
	v_dual_fmamk_f32 v163, v131, 0xbf788fa5, v130 :: v_dual_fmamk_f32 v170, v124, 0xbf788fa5, v151
	v_fma_f32 v130, 0xbf788fa5, v131, -v130
	v_add_f32_e32 v115, v123, v115
	v_fma_f32 v123, 0x3f116cb1, v50, -v144
	v_add_f32_e32 v139, v49, v139
	v_add_f32_e32 v160, v49, v160
	v_fma_f32 v141, 0x3df6dbef, v131, -v141
	v_add_f32_e32 v136, v48, v136
	v_fmamk_f32 v162, v131, 0xbf3f9e67, v143
	v_mul_f32_e32 v149, 0xbf29c268, v120
	v_fma_f32 v143, 0xbf3f9e67, v131, -v143
	v_dual_fmamk_f32 v127, v51, 0x3f116cb1, v145 :: v_dual_add_f32 v130, v49, v130
	v_fmac_f32_e32 v144, 0x3f116cb1, v50
	v_fma_f32 v131, 0x3f116cb1, v51, -v145
	v_fma_f32 v145, 0x3df6dbef, v90, -v132
	;; [unrolled: 1-line block ×3, first 2 shown]
	v_fmac_f32_e32 v132, 0x3df6dbef, v90
	v_fma_f32 v167, 0xbf3f9e67, v110, -v148
	v_fma_f32 v169, 0xbf788fa5, v121, -v150
	v_fmac_f32_e32 v146, 0xbeb58ec6, v94
	v_dual_fmac_f32 v148, 0xbf3f9e67, v110 :: v_dual_add_f32 v135, v48, v135
	v_fmac_f32_e32 v150, 0xbf788fa5, v121
	v_dual_add_f32 v128, v49, v128 :: v_dual_add_f32 v155, v48, v155
	v_add_f32_e32 v141, v49, v141
	v_dual_add_f32 v137, v48, v137 :: v_dual_add_f32 v142, v49, v142
	v_dual_fmamk_f32 v166, v96, 0xbeb58ec6, v147 :: v_dual_add_f32 v161, v49, v161
	v_add_f32_e32 v162, v49, v162
	v_dual_fmamk_f32 v168, v112, 0xbf3f9e67, v149 :: v_dual_add_f32 v143, v49, v143
	v_add_f32_e32 v158, v48, v158
	v_dual_fmamk_f32 v164, v91, 0x3df6dbef, v133 :: v_dual_add_f32 v159, v49, v159
	v_fma_f32 v133, 0x3df6dbef, v91, -v133
	v_add_f32_e32 v163, v49, v163
	v_add_f32_e32 v129, v48, v129
	;; [unrolled: 1-line block ×4, first 2 shown]
	v_dual_add_f32 v157, v48, v157 :: v_dual_add_f32 v48, v122, v118
	v_add_f32_e32 v118, v144, v134
	s_delay_alu instid0(VALU_DEP_4) | instskip(NEXT) | instid1(VALU_DEP_4)
	v_dual_add_f32 v49, v49, v102 :: v_dual_add_f32 v122, v131, v139
	v_add_f32_e32 v102, v145, v104
	s_delay_alu instid0(VALU_DEP_4)
	v_add_f32_e32 v48, v48, v116
	v_add_f32_e32 v115, v127, v128
	v_fma_f32 v147, 0xbeb58ec6, v96, -v147
	v_add_f32_e32 v116, v133, v122
	v_fma_f32 v149, 0xbf3f9e67, v112, -v149
	v_add_f32_e32 v48, v48, v114
	v_add_f32_e32 v104, v164, v115
	;; [unrolled: 1-line block ×3, first 2 shown]
	v_dual_add_f32 v115, v132, v118 :: v_dual_add_f32 v114, v147, v116
	s_delay_alu instid0(VALU_DEP_3) | instskip(NEXT) | instid1(VALU_DEP_3)
	v_dual_add_f32 v102, v165, v102 :: v_dual_add_f32 v103, v166, v104
	v_dual_add_f32 v48, v48, v113 :: v_dual_add_f32 v49, v49, v100
	s_delay_alu instid0(VALU_DEP_3) | instskip(NEXT) | instid1(VALU_DEP_3)
	v_add_f32_e32 v104, v146, v115
	v_add_f32_e32 v100, v167, v102
	s_delay_alu instid0(VALU_DEP_4) | instskip(SKIP_4) | instid1(VALU_DEP_3)
	v_add_f32_e32 v102, v168, v103
	v_fma_f32 v151, 0xbf788fa5, v124, -v151
	v_add_f32_e32 v113, v49, v101
	v_dual_add_f32 v103, v148, v104 :: v_dual_add_f32 v104, v149, v114
	v_dual_add_f32 v111, v48, v111 :: v_dual_add_f32 v48, v169, v100
	v_add_f32_e32 v98, v113, v98
	v_add_f32_e32 v49, v170, v102
	s_delay_alu instid0(VALU_DEP_4) | instskip(NEXT) | instid1(VALU_DEP_4)
	v_dual_add_f32 v100, v150, v103 :: v_dual_add_f32 v101, v151, v104
	v_add_f32_e32 v102, v111, v107
	v_fma_f32 v103, 0xbeb58ec6, v50, -v152
	v_mul_f32_e32 v104, 0xbf6f5d39, v89
	v_dual_mul_f32 v107, 0xbe750f2a, v92 :: v_dual_add_f32 v98, v98, v99
	v_mul_f32_e32 v111, 0xbe750f2a, v93
	s_delay_alu instid0(VALU_DEP_4) | instskip(NEXT) | instid1(VALU_DEP_4)
	v_dual_add_f32 v102, v102, v105 :: v_dual_add_f32 v99, v103, v154
	v_fmamk_f32 v103, v51, 0xbeb58ec6, v104
	s_delay_alu instid0(VALU_DEP_4) | instskip(NEXT) | instid1(VALU_DEP_3)
	v_fma_f32 v105, 0xbf788fa5, v90, -v107
	v_dual_mul_f32 v113, 0x3f29c268, v106 :: v_dual_add_f32 v102, v102, v117
	v_dual_add_f32 v95, v98, v95 :: v_dual_fmac_f32 v152, 0xbeb58ec6, v50
	v_mul_f32_e32 v116, 0x3f7e222b, v119
	s_delay_alu instid0(VALU_DEP_3) | instskip(SKIP_2) | instid1(VALU_DEP_4)
	v_dual_add_f32 v99, v105, v99 :: v_dual_add_f32 v98, v102, v109
	v_fmamk_f32 v105, v91, 0xbf788fa5, v111
	v_fma_f32 v114, 0xbf3f9e67, v94, -v113
	v_fma_f32 v117, 0x3df6dbef, v110, -v116
	v_mul_f32_e32 v115, 0x3f29c268, v108
	v_add_f32_e32 v103, v103, v159
	v_fmac_f32_e32 v107, 0xbf788fa5, v90
	v_fmac_f32_e32 v113, 0xbf3f9e67, v94
	v_dual_mul_f32 v109, 0x3eedf032, v125 :: v_dual_mul_f32 v122, 0x3eedf032, v108
	s_delay_alu instid0(VALU_DEP_4) | instskip(SKIP_3) | instid1(VALU_DEP_3)
	v_add_f32_e32 v103, v105, v103
	v_add_f32_e32 v105, v114, v99
	v_dual_add_f32 v99, v95, v97 :: v_dual_fmac_f32 v116, 0x3df6dbef, v110
	v_fma_f32 v111, 0xbf788fa5, v91, -v111
	v_dual_mul_f32 v131, 0xbf7e222b, v108 :: v_dual_add_f32 v102, v117, v105
	v_fmamk_f32 v114, v96, 0xbf3f9e67, v115
	v_mul_f32_e32 v105, 0x3eedf032, v126
	v_fmamk_f32 v117, v124, 0x3f62ad3f, v109
	v_mul_f32_e32 v132, 0x3e750f2a, v119
	v_fma_f32 v109, 0x3f62ad3f, v124, -v109
	v_add_f32_e32 v97, v114, v103
	v_add_f32_e32 v114, v152, v135
	v_fma_f32 v103, 0xbeb58ec6, v51, -v104
	v_fma_f32 v133, 0xbf788fa5, v110, -v132
	v_fmac_f32_e32 v132, 0xbf788fa5, v110
	v_mul_f32_e32 v123, 0xbf52af12, v119
	v_add_f32_e32 v107, v107, v114
	v_mul_f32_e32 v95, 0x3f7e222b, v120
	v_add_f32_e32 v103, v103, v140
	v_fma_f32 v114, 0xbf3f9e67, v96, -v115
	v_mul_f32_e32 v135, 0x3e750f2a, v108
	v_mul_f32_e32 v139, 0x3eedf032, v89
	v_fmamk_f32 v104, v112, 0x3df6dbef, v95
	v_mul_f32_e32 v144, 0xbf6f5d39, v125
	s_delay_alu instid0(VALU_DEP_2) | instskip(SKIP_1) | instid1(VALU_DEP_1)
	v_add_f32_e32 v97, v104, v97
	v_fma_f32 v104, 0x3f62ad3f, v121, -v105
	v_add_f32_e32 v102, v104, v102
	v_add_f32_e32 v104, v113, v107
	v_fma_f32 v95, 0x3df6dbef, v112, -v95
	s_delay_alu instid0(VALU_DEP_2) | instskip(SKIP_2) | instid1(VALU_DEP_2)
	v_dual_mul_f32 v113, 0xbe750f2a, v89 :: v_dual_add_f32 v104, v116, v104
	v_dual_mul_f32 v116, 0x3f6f5d39, v93 :: v_dual_add_f32 v111, v111, v103
	v_fmac_f32_e32 v105, 0x3f62ad3f, v121
	v_dual_add_f32 v107, v114, v111 :: v_dual_mul_f32 v114, 0x3f6f5d39, v92
	v_add_f32_e32 v103, v117, v97
	v_mul_f32_e32 v97, 0xbe750f2a, v88
	v_mul_f32_e32 v117, 0x3eedf032, v106
	s_delay_alu instid0(VALU_DEP_4)
	v_add_f32_e32 v95, v95, v107
	v_fma_f32 v115, 0xbeb58ec6, v90, -v114
	v_add_f32_e32 v104, v105, v104
	v_fma_f32 v111, 0xbf788fa5, v50, -v97
	v_fmac_f32_e32 v97, 0xbf788fa5, v50
	v_fma_f32 v118, 0x3f62ad3f, v94, -v117
	v_add_f32_e32 v105, v109, v95
	v_mul_f32_e32 v95, 0xbf52af12, v120
	v_add_f32_e32 v107, v111, v155
	v_fmamk_f32 v111, v51, 0xbf788fa5, v113
	v_dual_add_f32 v97, v97, v136 :: v_dual_fmac_f32 v114, 0xbeb58ec6, v90
	v_fmac_f32_e32 v117, 0x3f62ad3f, v94
	s_delay_alu instid0(VALU_DEP_4) | instskip(NEXT) | instid1(VALU_DEP_4)
	v_add_f32_e32 v107, v115, v107
	v_add_f32_e32 v111, v111, v160
	v_fmamk_f32 v115, v91, 0xbeb58ec6, v116
	v_fma_f32 v116, 0xbeb58ec6, v91, -v116
	v_add_f32_e32 v97, v114, v97
	v_add_f32_e32 v107, v118, v107
	v_fma_f32 v118, 0x3f116cb1, v110, -v123
	v_add_f32_e32 v111, v115, v111
	v_fmamk_f32 v115, v96, 0x3f62ad3f, v122
	v_dual_mul_f32 v136, 0x3eedf032, v119 :: v_dual_add_f32 v97, v117, v97
	s_delay_alu instid0(VALU_DEP_4) | instskip(NEXT) | instid1(VALU_DEP_3)
	v_dual_add_f32 v107, v118, v107 :: v_dual_mul_f32 v118, 0xbf29c268, v125
	v_add_f32_e32 v109, v115, v111
	v_fma_f32 v111, 0xbf788fa5, v51, -v113
	v_fmamk_f32 v113, v112, 0x3f116cb1, v95
	v_mul_f32_e32 v115, 0xbf29c268, v126
	v_fmamk_f32 v127, v124, 0xbf3f9e67, v118
	v_fmac_f32_e32 v123, 0x3f116cb1, v110
	v_add_f32_e32 v111, v111, v141
	v_add_f32_e32 v109, v113, v109
	v_fma_f32 v113, 0xbf3f9e67, v121, -v115
	v_fma_f32 v95, 0x3f116cb1, v112, -v95
	v_mul_f32_e32 v117, 0x3f29c268, v89
	v_add_f32_e32 v111, v116, v111
	v_fma_f32 v116, 0x3f62ad3f, v96, -v122
	v_add_f32_e32 v113, v113, v107
	v_dual_mul_f32 v107, 0x3f29c268, v88 :: v_dual_add_f32 v114, v127, v109
	s_delay_alu instid0(VALU_DEP_3) | instskip(SKIP_1) | instid1(VALU_DEP_3)
	v_dual_mul_f32 v122, 0x3eedf032, v92 :: v_dual_add_f32 v109, v116, v111
	v_add_f32_e32 v97, v123, v97
	v_fma_f32 v111, 0xbf3f9e67, v50, -v107
	v_fmac_f32_e32 v107, 0xbf3f9e67, v50
	s_delay_alu instid0(VALU_DEP_4)
	v_fma_f32 v116, 0x3f62ad3f, v90, -v122
	v_add_f32_e32 v95, v95, v109
	v_mul_f32_e32 v123, 0x3eedf032, v93
	v_add_f32_e32 v109, v111, v156
	v_fmamk_f32 v111, v51, 0xbf3f9e67, v117
	v_add_f32_e32 v107, v107, v137
	v_fma_f32 v117, 0xbf3f9e67, v51, -v117
	v_fmac_f32_e32 v122, 0x3f62ad3f, v90
	v_mul_f32_e32 v127, 0xbf7e222b, v106
	v_fmac_f32_e32 v115, 0xbf3f9e67, v121
	v_fma_f32 v118, 0xbf3f9e67, v124, -v118
	s_delay_alu instid0(VALU_DEP_4) | instskip(SKIP_4) | instid1(VALU_DEP_4)
	v_dual_add_f32 v134, v117, v142 :: v_dual_add_f32 v107, v122, v107
	v_fma_f32 v122, 0x3f62ad3f, v91, -v123
	v_fma_f32 v128, 0x3df6dbef, v94, -v127
	v_add_f32_e32 v115, v115, v97
	v_fmac_f32_e32 v127, 0x3df6dbef, v94
	v_dual_mul_f32 v137, 0x3eedf032, v120 :: v_dual_add_f32 v122, v122, v134
	v_dual_mul_f32 v134, 0x3e750f2a, v106 :: v_dual_add_f32 v111, v111, v161
	;; [unrolled: 1-line block ×3, first 2 shown]
	v_fmamk_f32 v116, v91, 0x3f62ad3f, v123
	v_fma_f32 v123, 0x3df6dbef, v96, -v131
	v_dual_add_f32 v107, v127, v107 :: v_dual_mul_f32 v142, 0x3f52af12, v108
	s_delay_alu instid0(VALU_DEP_4) | instskip(NEXT) | instid1(VALU_DEP_4)
	v_add_f32_e32 v109, v128, v109
	v_add_f32_e32 v111, v116, v111
	v_fmamk_f32 v128, v96, 0x3df6dbef, v131
	v_add_f32_e32 v116, v118, v95
	s_delay_alu instid0(VALU_DEP_4) | instskip(SKIP_1) | instid1(VALU_DEP_4)
	v_dual_add_f32 v122, v123, v122 :: v_dual_add_f32 v97, v133, v109
	v_mul_f32_e32 v109, 0x3e750f2a, v120
	v_add_f32_e32 v95, v128, v111
	v_mul_f32_e32 v111, 0x3f52af12, v126
	v_mul_f32_e32 v133, 0x3f52af12, v125
	;; [unrolled: 1-line block ×3, first 2 shown]
	v_fmamk_f32 v118, v112, 0xbf788fa5, v109
	v_fma_f32 v109, 0xbf788fa5, v112, -v109
	v_fma_f32 v128, 0x3f116cb1, v121, -v111
	s_delay_alu instid0(VALU_DEP_4) | instskip(NEXT) | instid1(VALU_DEP_4)
	v_dual_add_f32 v107, v132, v107 :: v_dual_fmamk_f32 v132, v91, 0x3f116cb1, v131
	v_add_f32_e32 v95, v118, v95
	s_delay_alu instid0(VALU_DEP_4) | instskip(NEXT) | instid1(VALU_DEP_4)
	v_add_f32_e32 v109, v109, v122
	v_add_f32_e32 v117, v128, v97
	v_fmamk_f32 v97, v124, 0x3f116cb1, v133
	v_mul_f32_e32 v128, 0xbf52af12, v92
	v_fmac_f32_e32 v111, 0x3f116cb1, v121
	v_dual_mul_f32 v92, 0xbf29c268, v92 :: v_dual_mul_f32 v93, 0xbf29c268, v93
	s_delay_alu instid0(VALU_DEP_4) | instskip(SKIP_1) | instid1(VALU_DEP_4)
	v_dual_add_f32 v118, v97, v95 :: v_dual_mul_f32 v95, 0x3f7e222b, v88
	v_mul_f32_e32 v97, 0x3f7e222b, v89
	v_add_f32_e32 v107, v111, v107
	v_mul_f32_e32 v111, 0x3eedf032, v88
	v_fma_f32 v140, 0xbf3f9e67, v90, -v92
	v_fma_f32 v123, 0x3df6dbef, v50, -v95
	v_fmamk_f32 v127, v51, 0x3df6dbef, v97
	v_fmamk_f32 v141, v91, 0xbf3f9e67, v93
	v_mul_f32_e32 v119, 0xbf6f5d39, v119
	s_delay_alu instid0(VALU_DEP_4) | instskip(NEXT) | instid1(VALU_DEP_4)
	v_dual_fmac_f32 v95, 0x3df6dbef, v50 :: v_dual_add_f32 v122, v123, v157
	v_add_f32_e32 v123, v127, v162
	v_fma_f32 v127, 0x3f116cb1, v90, -v128
	v_fma_f32 v97, 0x3df6dbef, v51, -v97
	;; [unrolled: 1-line block ×3, first 2 shown]
	v_add_f32_e32 v95, v95, v138
	s_delay_alu instid0(VALU_DEP_4) | instskip(SKIP_4) | instid1(VALU_DEP_3)
	v_dual_add_f32 v123, v132, v123 :: v_dual_add_f32 v122, v127, v122
	v_fma_f32 v127, 0xbf788fa5, v94, -v134
	v_dual_fmamk_f32 v132, v96, 0xbf788fa5, v135 :: v_dual_add_f32 v97, v97, v143
	v_fmac_f32_e32 v128, 0x3f116cb1, v90
	v_fmac_f32_e32 v92, 0xbf3f9e67, v90
	v_dual_add_f32 v122, v127, v122 :: v_dual_add_f32 v123, v132, v123
	v_fma_f32 v127, 0x3f62ad3f, v110, -v136
	v_fmamk_f32 v132, v112, 0x3f62ad3f, v137
	v_fma_f32 v90, 0xbf3f9e67, v91, -v93
	v_dual_mul_f32 v120, 0xbf6f5d39, v120 :: v_dual_add_f32 v93, v128, v95
	s_delay_alu instid0(VALU_DEP_3)
	v_dual_add_f32 v88, v127, v122 :: v_dual_add_f32 v89, v132, v123
	v_fma_f32 v123, 0x3f62ad3f, v50, -v111
	v_fmamk_f32 v127, v51, 0x3f62ad3f, v139
	v_fmac_f32_e32 v111, 0x3f62ad3f, v50
	v_fma_f32 v50, 0x3f62ad3f, v51, -v139
	v_mul_f32_e32 v122, 0xbf6f5d39, v126
	v_add_f32_e32 v123, v123, v158
	v_dual_add_f32 v127, v127, v163 :: v_dual_mul_f32 v126, 0x3f7e222b, v126
	v_mul_f32_e32 v51, 0x3f7e222b, v125
	s_delay_alu instid0(VALU_DEP_3) | instskip(NEXT) | instid1(VALU_DEP_3)
	v_dual_add_f32 v111, v111, v129 :: v_dual_add_f32 v108, v140, v123
	v_add_f32_e32 v123, v141, v127
	v_fma_f32 v127, 0x3f116cb1, v94, -v106
	v_fmamk_f32 v140, v96, 0x3f116cb1, v142
	v_add_f32_e32 v50, v50, v130
	v_fma_f32 v125, 0x3f116cb1, v91, -v131
	v_fma_f32 v91, 0x3df6dbef, v121, -v126
	v_add_f32_e32 v127, v127, v108
	v_add_f32_e32 v123, v140, v123
	v_fma_f32 v140, 0xbeb58ec6, v110, -v119
	v_add_f32_e32 v108, v133, v109
	v_dual_add_f32 v95, v125, v97 :: v_dual_add_f32 v92, v92, v111
	s_delay_alu instid0(VALU_DEP_3)
	v_dual_add_f32 v90, v90, v50 :: v_dual_add_f32 v109, v140, v127
	v_fmac_f32_e32 v134, 0xbf788fa5, v94
	v_fma_f32 v97, 0xbf788fa5, v96, -v135
	v_fmac_f32_e32 v106, 0x3f116cb1, v94
	v_fma_f32 v94, 0x3f116cb1, v96, -v142
	v_dual_fmamk_f32 v145, v112, 0xbeb58ec6, v120 :: v_dual_add_f32 v50, v91, v109
	v_add_f32_e32 v91, v134, v93
	s_delay_alu instid0(VALU_DEP_4) | instskip(NEXT) | instid1(VALU_DEP_4)
	v_dual_add_f32 v93, v97, v95 :: v_dual_add_f32 v92, v106, v92
	v_add_f32_e32 v90, v94, v90
	v_fma_f32 v94, 0x3f62ad3f, v112, -v137
	v_fmac_f32_e32 v119, 0xbeb58ec6, v110
	v_fma_f32 v95, 0xbeb58ec6, v112, -v120
	v_fmac_f32_e32 v136, 0x3f62ad3f, v110
	v_fma_f32 v132, 0xbeb58ec6, v121, -v122
	v_fmamk_f32 v141, v124, 0xbeb58ec6, v144
	v_dual_add_f32 v123, v145, v123 :: v_dual_fmamk_f32 v96, v124, 0x3df6dbef, v51
	v_add_f32_e32 v94, v94, v93
	v_add_f32_e32 v92, v119, v92
	v_dual_add_f32 v93, v95, v90 :: v_dual_fmac_f32 v126, 0x3df6dbef, v121
	v_fma_f32 v95, 0x3df6dbef, v124, -v51
	v_dual_add_f32 v91, v136, v91 :: v_dual_fmac_f32 v122, 0xbeb58ec6, v121
	v_fma_f32 v97, 0xbeb58ec6, v124, -v144
	v_dual_add_f32 v88, v132, v88 :: v_dual_add_f32 v89, v141, v89
	v_dual_add_f32 v51, v96, v123 :: v_dual_add_f32 v92, v126, v92
	s_delay_alu instid0(VALU_DEP_4) | instskip(NEXT) | instid1(VALU_DEP_4)
	v_dual_add_f32 v93, v95, v93 :: v_dual_add_f32 v90, v122, v91
	v_add_f32_e32 v91, v97, v94
	ds_store_2addr_b64 v79, v[98:99], v[48:49] offset1:169
	ds_store_2addr_b64 v85, v[102:103], v[113:114] offset0:82 offset1:251
	ds_store_2addr_b64 v84, v[117:118], v[88:89] offset0:36 offset1:205
	;; [unrolled: 1-line block ×5, first 2 shown]
	ds_store_b64 v79, v[100:101] offset:16224
	global_wb scope:SCOPE_SE
	s_wait_dscnt 0x0
	s_barrier_signal -1
	s_barrier_wait -1
	global_inv scope:SCOPE_SE
	s_clause 0xc
	global_load_b64 v[88:89], v79, s[8:9] offset:17576
	global_load_b64 v[90:91], v79, s[2:3] offset:1352
	;; [unrolled: 1-line block ×13, first 2 shown]
	ds_load_2addr_b64 v[48:51], v79 offset1:169
	s_mov_b32 s2, 0xaab49c24
	s_mov_b32 s3, 0x3f3dd46b
	s_wait_loadcnt_dscnt 0xb00
	v_dual_mul_f32 v94, v51, v91 :: v_dual_mul_f32 v93, v49, v89
	v_dual_mul_f32 v92, v48, v89 :: v_dual_mul_f32 v89, v50, v91
	s_delay_alu instid0(VALU_DEP_2) | instskip(NEXT) | instid1(VALU_DEP_2)
	v_fma_f32 v91, v48, v88, -v93
	v_fmac_f32_e32 v92, v49, v88
	s_delay_alu instid0(VALU_DEP_4) | instskip(NEXT) | instid1(VALU_DEP_4)
	v_fma_f32 v88, v50, v90, -v94
	v_fmac_f32_e32 v89, v51, v90
	ds_store_2addr_b64 v79, v[91:92], v[88:89] offset1:169
	ds_load_2addr_b64 v[48:51], v85 offset0:82 offset1:251
	ds_load_2addr_b64 v[88:91], v84 offset0:36 offset1:205
	;; [unrolled: 1-line block ×5, first 2 shown]
	ds_load_b64 v[126:127], v79 offset:16224
	s_wait_loadcnt_dscnt 0xa05
	v_mul_f32_e32 v128, v49, v105
	s_wait_loadcnt 0x9
	v_dual_mul_f32 v129, v48, v105 :: v_dual_mul_f32 v130, v51, v107
	v_mul_f32_e32 v105, v50, v107
	s_wait_loadcnt_dscnt 0x804
	v_mul_f32_e32 v131, v89, v109
	s_wait_loadcnt 0x7
	v_dual_mul_f32 v107, v88, v109 :: v_dual_mul_f32 v132, v91, v111
	v_mul_f32_e32 v109, v90, v111
	;; [unrolled: 5-line block ×5, first 2 shown]
	s_wait_loadcnt_dscnt 0x0
	v_mul_f32_e32 v139, v127, v125
	v_mul_f32_e32 v123, v126, v125
	v_fma_f32 v128, v48, v104, -v128
	v_fmac_f32_e32 v129, v49, v104
	v_fma_f32 v104, v50, v106, -v130
	v_fmac_f32_e32 v105, v51, v106
	;; [unrolled: 2-line block ×11, first 2 shown]
	ds_store_2addr_b64 v85, v[128:129], v[104:105] offset0:82 offset1:251
	ds_store_2addr_b64 v84, v[106:107], v[108:109] offset0:36 offset1:205
	;; [unrolled: 1-line block ×5, first 2 shown]
	ds_store_b64 v79, v[122:123] offset:16224
	global_wb scope:SCOPE_SE
	s_wait_dscnt 0x0
	s_barrier_signal -1
	s_barrier_wait -1
	global_inv scope:SCOPE_SE
	ds_load_2addr_b64 v[100:103], v79 offset1:169
	ds_load_2addr_b64 v[104:107], v84 offset0:36 offset1:205
	ds_load_2addr_b64 v[108:111], v82 offset0:72 offset1:241
	;; [unrolled: 1-line block ×4, first 2 shown]
	ds_load_b64 v[124:125], v79 offset:16224
	ds_load_2addr_b64 v[120:123], v83 offset0:54 offset1:223
	global_wb scope:SCOPE_SE
	s_wait_dscnt 0x0
	s_barrier_signal -1
	s_barrier_wait -1
	global_inv scope:SCOPE_SE
	v_add_f32_e32 v126, v100, v102
	v_add_f32_e32 v49, v108, v106
	v_dual_sub_f32 v88, v104, v110 :: v_dual_add_f32 v95, v118, v112
	v_sub_f32_e32 v96, v112, v118
	s_delay_alu instid0(VALU_DEP_4) | instskip(SKIP_3) | instid1(VALU_DEP_4)
	v_add_f32_e32 v112, v126, v112
	v_sub_f32_e32 v93, v114, v116
	v_add_f32_e32 v51, v110, v104
	v_dual_add_f32 v127, v101, v103 :: v_dual_sub_f32 v128, v103, v125
	v_dual_add_f32 v112, v112, v114 :: v_dual_add_f32 v103, v125, v103
	v_dual_add_f32 v129, v124, v102 :: v_dual_sub_f32 v102, v102, v124
	v_add_f32_e32 v50, v109, v107
	s_delay_alu instid0(VALU_DEP_3) | instskip(NEXT) | instid1(VALU_DEP_4)
	v_add_f32_e32 v104, v112, v104
	v_mul_f32_e32 v134, 0x3f116cb1, v103
	v_sub_f32_e32 v48, v106, v108
	v_dual_add_f32 v98, v119, v113 :: v_dual_sub_f32 v99, v113, v119
	s_delay_alu instid0(VALU_DEP_4) | instskip(NEXT) | instid1(VALU_DEP_4)
	v_add_f32_e32 v104, v104, v106
	v_dual_fmamk_f32 v142, v102, 0x3f52af12, v134 :: v_dual_sub_f32 v97, v115, v117
	v_dual_add_f32 v90, v111, v105 :: v_dual_sub_f32 v91, v105, v111
	s_delay_alu instid0(VALU_DEP_3) | instskip(SKIP_2) | instid1(VALU_DEP_3)
	v_dual_add_f32 v104, v104, v120 :: v_dual_sub_f32 v89, v107, v109
	v_mul_f32_e32 v130, 0xbf7e222b, v128
	v_mul_f32_e32 v126, 0xbeedf032, v128
	v_dual_mul_f32 v131, 0xbf6f5d39, v128 :: v_dual_add_f32 v104, v104, v122
	v_mul_f32_e32 v132, 0xbf29c268, v128
	s_delay_alu instid0(VALU_DEP_4) | instskip(SKIP_1) | instid1(VALU_DEP_4)
	v_dual_fmamk_f32 v138, v129, 0x3df6dbef, v130 :: v_dual_mul_f32 v135, 0x3df6dbef, v103
	v_mul_f32_e32 v136, 0xbeb58ec6, v103
	v_add_f32_e32 v104, v104, v108
	v_add_f32_e32 v108, v101, v142
	v_dual_mul_f32 v142, 0x3df6dbef, v50 :: v_dual_add_f32 v113, v127, v113
	s_delay_alu instid0(VALU_DEP_3) | instskip(SKIP_2) | instid1(VALU_DEP_4)
	v_dual_mul_f32 v127, 0xbf52af12, v128 :: v_dual_add_f32 v104, v104, v110
	v_mul_f32_e32 v128, 0xbe750f2a, v128
	v_mul_f32_e32 v137, 0xbf3f9e67, v103
	v_dual_add_f32 v113, v113, v115 :: v_dual_add_f32 v110, v100, v138
	v_mul_f32_e32 v133, 0x3f62ad3f, v103
	v_dual_mul_f32 v103, 0xbf788fa5, v103 :: v_dual_add_f32 v104, v104, v116
	s_delay_alu instid0(VALU_DEP_3) | instskip(SKIP_3) | instid1(VALU_DEP_4)
	v_dual_add_f32 v105, v113, v105 :: v_dual_add_f32 v92, v116, v114
	v_add_f32_e32 v94, v117, v115
	v_fmamk_f32 v114, v129, 0x3f62ad3f, v126
	v_fma_f32 v115, 0x3f62ad3f, v129, -v126
	v_add_f32_e32 v105, v105, v107
	v_fmamk_f32 v126, v129, 0x3f116cb1, v127
	v_fma_f32 v127, 0x3f116cb1, v129, -v127
	v_fma_f32 v130, 0x3df6dbef, v129, -v130
	v_fmamk_f32 v139, v129, 0xbeb58ec6, v131
	v_add_f32_e32 v105, v105, v121
	v_fma_f32 v131, 0xbeb58ec6, v129, -v131
	v_fmamk_f32 v140, v129, 0xbf3f9e67, v132
	v_fma_f32 v132, 0xbf3f9e67, v129, -v132
	v_fmamk_f32 v141, v129, 0xbf788fa5, v128
	v_add_f32_e32 v105, v105, v123
	v_fma_f32 v128, 0xbf788fa5, v129, -v128
	v_fmamk_f32 v129, v102, 0x3eedf032, v133
	v_fmac_f32_e32 v134, 0xbf52af12, v102
	s_delay_alu instid0(VALU_DEP_4) | instskip(SKIP_3) | instid1(VALU_DEP_4)
	v_dual_fmamk_f32 v112, v102, 0x3f6f5d39, v136 :: v_dual_add_f32 v105, v105, v109
	v_fmac_f32_e32 v136, 0xbf6f5d39, v102
	v_fmamk_f32 v107, v102, 0x3e750f2a, v103
	v_fmac_f32_e32 v103, 0xbe750f2a, v102
	v_dual_add_f32 v104, v104, v118 :: v_dual_add_f32 v105, v105, v111
	v_fmamk_f32 v143, v102, 0x3f7e222b, v135
	v_fmac_f32_e32 v135, 0xbf7e222b, v102
	v_fmamk_f32 v106, v102, 0x3f29c268, v137
	v_fmac_f32_e32 v137, 0xbf29c268, v102
	v_add_f32_e32 v105, v105, v117
	v_dual_add_f32 v113, v101, v129 :: v_dual_add_f32 v126, v100, v126
	v_add_f32_e32 v109, v100, v127
	v_add_f32_e32 v127, v101, v134
	;; [unrolled: 1-line block ×3, first 2 shown]
	v_dual_add_f32 v117, v100, v139 :: v_dual_add_f32 v112, v101, v112
	v_fmac_f32_e32 v133, 0xbeedf032, v102
	v_add_f32_e32 v102, v100, v114
	v_add_f32_e32 v114, v100, v115
	;; [unrolled: 1-line block ×3, first 2 shown]
	v_dual_add_f32 v105, v105, v119 :: v_dual_add_f32 v130, v100, v140
	v_add_f32_e32 v132, v100, v132
	v_add_f32_e32 v134, v100, v141
	;; [unrolled: 1-line block ×7, first 2 shown]
	v_mul_f32_e32 v103, 0xbf52af12, v99
	v_add_f32_e32 v115, v101, v133
	v_add_f32_e32 v111, v101, v143
	;; [unrolled: 1-line block ×4, first 2 shown]
	v_dual_add_f32 v135, v101, v107 :: v_dual_mul_f32 v104, 0x3f116cb1, v98
	v_sub_f32_e32 v120, v120, v122
	v_add_f32_e32 v131, v101, v106
	v_add_f32_e32 v101, v105, v125
	v_fmamk_f32 v105, v95, 0x3f116cb1, v103
	v_mul_f32_e32 v106, 0xbf7e222b, v97
	v_fmamk_f32 v107, v96, 0x3f52af12, v104
	v_mul_f32_e32 v137, 0x3df6dbef, v94
	v_mul_f32_e32 v138, 0xbf6f5d39, v91
	s_delay_alu instid0(VALU_DEP_4)
	v_dual_add_f32 v102, v105, v102 :: v_dual_fmamk_f32 v105, v92, 0x3df6dbef, v106
	v_add_f32_e32 v125, v123, v121
	v_add_f32_e32 v107, v107, v113
	v_fmamk_f32 v113, v93, 0x3f7e222b, v137
	v_mul_f32_e32 v139, 0xbeb58ec6, v90
	v_dual_add_f32 v102, v105, v102 :: v_dual_fmamk_f32 v105, v51, 0xbeb58ec6, v138
	s_delay_alu instid0(VALU_DEP_3) | instskip(NEXT) | instid1(VALU_DEP_3)
	v_dual_mul_f32 v140, 0xbf29c268, v89 :: v_dual_add_f32 v107, v113, v107
	v_fmamk_f32 v113, v88, 0x3f6f5d39, v139
	v_sub_f32_e32 v121, v121, v123
	s_delay_alu instid0(VALU_DEP_4) | instskip(NEXT) | instid1(VALU_DEP_4)
	v_add_f32_e32 v102, v105, v102
	v_fmamk_f32 v105, v49, 0xbf3f9e67, v140
	v_fma_f32 v103, 0x3f116cb1, v95, -v103
	v_dual_fmac_f32 v104, 0xbf52af12, v96 :: v_dual_add_f32 v107, v113, v107
	s_delay_alu instid0(VALU_DEP_3) | instskip(SKIP_1) | instid1(VALU_DEP_3)
	v_dual_mul_f32 v113, 0xbe750f2a, v121 :: v_dual_add_f32 v102, v105, v102
	v_mul_f32_e32 v105, 0xbf3f9e67, v50
	v_dual_add_f32 v103, v103, v114 :: v_dual_add_f32 v104, v104, v115
	v_fma_f32 v106, 0x3df6dbef, v92, -v106
	v_fmac_f32_e32 v137, 0xbf7e222b, v93
	s_delay_alu instid0(VALU_DEP_4) | instskip(SKIP_1) | instid1(VALU_DEP_3)
	v_fmamk_f32 v114, v48, 0x3f29c268, v105
	v_dual_fmamk_f32 v115, v124, 0xbf788fa5, v113 :: v_dual_mul_f32 v122, 0xbf788fa5, v125
	v_dual_add_f32 v103, v106, v103 :: v_dual_add_f32 v104, v137, v104
	v_fma_f32 v106, 0xbeb58ec6, v51, -v138
	v_fmac_f32_e32 v139, 0xbf6f5d39, v88
	s_delay_alu instid0(VALU_DEP_4) | instskip(SKIP_1) | instid1(VALU_DEP_4)
	v_dual_add_f32 v107, v114, v107 :: v_dual_add_f32 v102, v115, v102
	v_fmamk_f32 v114, v120, 0x3e750f2a, v122
	v_add_f32_e32 v106, v106, v103
	s_delay_alu instid0(VALU_DEP_4) | instskip(SKIP_4) | instid1(VALU_DEP_4)
	v_add_f32_e32 v104, v139, v104
	v_fma_f32 v115, 0xbf3f9e67, v49, -v140
	v_fmac_f32_e32 v105, 0xbf29c268, v48
	v_mul_f32_e32 v123, 0xbf6f5d39, v99
	v_mul_f32_e32 v137, 0xbeb58ec6, v98
	v_dual_add_f32 v103, v114, v107 :: v_dual_add_f32 v106, v115, v106
	s_delay_alu instid0(VALU_DEP_3) | instskip(NEXT) | instid1(VALU_DEP_3)
	v_dual_add_f32 v105, v105, v104 :: v_dual_fmamk_f32 v104, v95, 0xbeb58ec6, v123
	v_fmamk_f32 v107, v96, 0x3f6f5d39, v137
	v_mul_f32_e32 v114, 0xbe750f2a, v97
	v_mul_f32_e32 v115, 0xbf788fa5, v94
	v_fma_f32 v113, 0xbf788fa5, v124, -v113
	s_delay_alu instid0(VALU_DEP_4) | instskip(NEXT) | instid1(VALU_DEP_4)
	v_dual_add_f32 v104, v104, v126 :: v_dual_add_f32 v107, v107, v108
	v_fmamk_f32 v108, v92, 0xbf788fa5, v114
	s_delay_alu instid0(VALU_DEP_4) | instskip(SKIP_3) | instid1(VALU_DEP_4)
	v_fmamk_f32 v126, v93, 0x3e750f2a, v115
	v_mul_f32_e32 v138, 0x3f29c268, v91
	v_mul_f32_e32 v139, 0xbf3f9e67, v90
	v_fmac_f32_e32 v122, 0xbe750f2a, v120
	v_dual_add_f32 v108, v108, v104 :: v_dual_add_f32 v107, v126, v107
	s_delay_alu instid0(VALU_DEP_4) | instskip(NEXT) | instid1(VALU_DEP_4)
	v_fmamk_f32 v126, v51, 0xbf3f9e67, v138
	v_dual_fmamk_f32 v141, v88, 0xbf29c268, v139 :: v_dual_add_f32 v104, v113, v106
	v_mul_f32_e32 v140, 0x3f7e222b, v89
	s_delay_alu instid0(VALU_DEP_3) | instskip(NEXT) | instid1(VALU_DEP_3)
	v_dual_fmamk_f32 v113, v48, 0xbf7e222b, v142 :: v_dual_add_f32 v106, v126, v108
	v_add_f32_e32 v107, v141, v107
	s_delay_alu instid0(VALU_DEP_3) | instskip(SKIP_2) | instid1(VALU_DEP_4)
	v_dual_add_f32 v105, v122, v105 :: v_dual_fmamk_f32 v108, v49, 0x3df6dbef, v140
	v_fma_f32 v122, 0xbeb58ec6, v95, -v123
	v_fmac_f32_e32 v137, 0xbf6f5d39, v96
	v_add_f32_e32 v107, v113, v107
	v_fma_f32 v113, 0xbf788fa5, v92, -v114
	v_add_f32_e32 v106, v108, v106
	v_mul_f32_e32 v108, 0x3eedf032, v121
	v_add_f32_e32 v109, v122, v109
	v_dual_mul_f32 v122, 0x3f62ad3f, v125 :: v_dual_add_f32 v123, v137, v127
	v_fmac_f32_e32 v139, 0x3f29c268, v88
	s_delay_alu instid0(VALU_DEP_4)
	v_fmamk_f32 v114, v124, 0x3f62ad3f, v108
	v_fmac_f32_e32 v115, 0xbe750f2a, v93
	v_add_f32_e32 v109, v113, v109
	v_fma_f32 v113, 0xbf3f9e67, v51, -v138
	v_mul_f32_e32 v137, 0xbeb58ec6, v94
	v_add_f32_e32 v106, v114, v106
	v_dual_fmamk_f32 v114, v120, 0xbeedf032, v122 :: v_dual_add_f32 v115, v115, v123
	s_delay_alu instid0(VALU_DEP_4) | instskip(SKIP_2) | instid1(VALU_DEP_4)
	v_add_f32_e32 v109, v113, v109
	v_fma_f32 v113, 0x3df6dbef, v49, -v140
	v_mul_f32_e32 v123, 0xbe750f2a, v99
	v_add_f32_e32 v107, v114, v107
	v_dual_add_f32 v114, v139, v115 :: v_dual_mul_f32 v115, 0xbf788fa5, v98
	s_delay_alu instid0(VALU_DEP_4) | instskip(NEXT) | instid1(VALU_DEP_4)
	v_add_f32_e32 v109, v113, v109
	v_fmamk_f32 v113, v95, 0xbf788fa5, v123
	v_fmac_f32_e32 v142, 0x3f7e222b, v48
	v_mul_f32_e32 v126, 0x3f6f5d39, v97
	v_mul_f32_e32 v139, 0x3f62ad3f, v90
	v_fma_f32 v108, 0x3f62ad3f, v124, -v108
	v_dual_add_f32 v110, v113, v110 :: v_dual_fmamk_f32 v113, v96, 0x3e750f2a, v115
	s_delay_alu instid0(VALU_DEP_4) | instskip(SKIP_1) | instid1(VALU_DEP_3)
	v_dual_add_f32 v114, v142, v114 :: v_dual_fmamk_f32 v127, v92, 0xbeb58ec6, v126
	v_mul_f32_e32 v138, 0x3eedf032, v91
	v_dual_fmac_f32 v122, 0x3eedf032, v120 :: v_dual_add_f32 v111, v113, v111
	s_delay_alu instid0(VALU_DEP_3) | instskip(NEXT) | instid1(VALU_DEP_3)
	v_dual_fmamk_f32 v113, v93, 0xbf6f5d39, v137 :: v_dual_add_f32 v110, v127, v110
	v_fmamk_f32 v127, v51, 0x3f62ad3f, v138
	v_mul_f32_e32 v140, 0xbf52af12, v89
	s_delay_alu instid0(VALU_DEP_3) | instskip(SKIP_4) | instid1(VALU_DEP_4)
	v_dual_add_f32 v108, v108, v109 :: v_dual_add_f32 v111, v113, v111
	v_fmamk_f32 v113, v88, 0xbeedf032, v139
	v_add_f32_e32 v109, v122, v114
	v_fma_f32 v114, 0xbf788fa5, v95, -v123
	v_dual_fmac_f32 v115, 0xbe750f2a, v96 :: v_dual_add_f32 v110, v127, v110
	v_add_f32_e32 v111, v113, v111
	v_mul_f32_e32 v113, 0x3f116cb1, v50
	s_delay_alu instid0(VALU_DEP_4) | instskip(NEXT) | instid1(VALU_DEP_4)
	v_dual_fmamk_f32 v127, v49, 0x3f116cb1, v140 :: v_dual_add_f32 v114, v114, v129
	v_add_f32_e32 v115, v115, v116
	v_fma_f32 v116, 0xbeb58ec6, v92, -v126
	v_fmac_f32_e32 v137, 0x3f6f5d39, v93
	v_fmamk_f32 v122, v48, 0x3f52af12, v113
	v_dual_mul_f32 v123, 0xbf29c268, v121 :: v_dual_add_f32 v110, v127, v110
	v_mul_f32_e32 v126, 0xbf3f9e67, v125
	s_delay_alu instid0(VALU_DEP_4) | instskip(SKIP_4) | instid1(VALU_DEP_3)
	v_dual_add_f32 v114, v116, v114 :: v_dual_add_f32 v115, v137, v115
	v_fma_f32 v116, 0x3f62ad3f, v51, -v138
	v_fmac_f32_e32 v139, 0x3eedf032, v88
	v_dual_add_f32 v111, v122, v111 :: v_dual_fmamk_f32 v122, v124, 0xbf3f9e67, v123
	v_fmamk_f32 v127, v120, 0x3f29c268, v126
	v_dual_add_f32 v114, v116, v114 :: v_dual_add_f32 v115, v139, v115
	v_fma_f32 v116, 0x3f116cb1, v49, -v140
	s_delay_alu instid0(VALU_DEP_4) | instskip(SKIP_1) | instid1(VALU_DEP_3)
	v_dual_fmac_f32 v113, 0xbf52af12, v48 :: v_dual_add_f32 v110, v122, v110
	v_mul_f32_e32 v122, 0x3f29c268, v99
	v_dual_add_f32 v111, v127, v111 :: v_dual_add_f32 v114, v116, v114
	s_delay_alu instid0(VALU_DEP_3)
	v_add_f32_e32 v113, v113, v115
	v_mul_f32_e32 v115, 0xbf3f9e67, v98
	v_fma_f32 v116, 0xbf3f9e67, v124, -v123
	v_fmamk_f32 v123, v95, 0xbf3f9e67, v122
	v_mul_f32_e32 v127, 0x3eedf032, v97
	v_mul_f32_e32 v137, 0x3f62ad3f, v94
	v_fmamk_f32 v129, v96, 0xbf29c268, v115
	s_delay_alu instid0(VALU_DEP_4) | instskip(NEXT) | instid1(VALU_DEP_4)
	v_dual_mul_f32 v138, 0xbf7e222b, v91 :: v_dual_add_f32 v117, v123, v117
	v_fmamk_f32 v123, v92, 0x3f62ad3f, v127
	v_mul_f32_e32 v140, 0x3e750f2a, v89
	s_delay_alu instid0(VALU_DEP_4) | instskip(SKIP_1) | instid1(VALU_DEP_4)
	v_add_f32_e32 v112, v129, v112
	v_fmamk_f32 v129, v93, 0xbeedf032, v137
	v_dual_fmac_f32 v126, 0xbf29c268, v120 :: v_dual_add_f32 v117, v123, v117
	v_fmamk_f32 v123, v51, 0x3df6dbef, v138
	v_mul_f32_e32 v139, 0x3df6dbef, v90
	s_delay_alu instid0(VALU_DEP_4) | instskip(SKIP_1) | instid1(VALU_DEP_4)
	v_dual_add_f32 v129, v129, v112 :: v_dual_add_f32 v112, v116, v114
	v_fmamk_f32 v116, v49, 0xbf788fa5, v140
	v_add_f32_e32 v114, v123, v117
	v_fma_f32 v122, 0xbf3f9e67, v95, -v122
	v_fmac_f32_e32 v115, 0x3f29c268, v96
	v_mul_f32_e32 v123, 0x3f52af12, v121
	v_fmamk_f32 v141, v88, 0x3f7e222b, v139
	v_dual_add_f32 v113, v126, v113 :: v_dual_add_f32 v114, v116, v114
	v_mul_f32_e32 v116, 0xbf788fa5, v50
	v_dual_add_f32 v118, v122, v118 :: v_dual_fmac_f32 v137, 0x3eedf032, v93
	v_dual_fmamk_f32 v126, v124, 0x3f116cb1, v123 :: v_dual_add_f32 v115, v115, v119
	v_fma_f32 v119, 0x3f62ad3f, v92, -v127
	s_delay_alu instid0(VALU_DEP_4) | instskip(SKIP_1) | instid1(VALU_DEP_3)
	v_dual_add_f32 v117, v141, v129 :: v_dual_fmamk_f32 v122, v48, 0xbe750f2a, v116
	v_mul_f32_e32 v127, 0x3f116cb1, v125
	v_dual_add_f32 v115, v137, v115 :: v_dual_add_f32 v118, v119, v118
	v_fma_f32 v119, 0x3df6dbef, v51, -v138
	v_fmac_f32_e32 v139, 0xbf7e222b, v88
	v_add_f32_e32 v117, v122, v117
	v_add_f32_e32 v114, v126, v114
	v_fmamk_f32 v122, v120, 0xbf52af12, v127
	v_add_f32_e32 v118, v119, v118
	v_add_f32_e32 v119, v139, v115
	v_fma_f32 v126, 0xbf788fa5, v49, -v140
	v_fmac_f32_e32 v116, 0x3e750f2a, v48
	v_mul_f32_e32 v129, 0x3f7e222b, v99
	v_mul_f32_e32 v137, 0x3df6dbef, v98
	v_add_f32_e32 v115, v122, v117
	s_delay_alu instid0(VALU_DEP_4) | instskip(NEXT) | instid1(VALU_DEP_4)
	v_dual_add_f32 v117, v126, v118 :: v_dual_add_f32 v118, v116, v119
	v_fmamk_f32 v116, v95, 0x3df6dbef, v129
	s_delay_alu instid0(VALU_DEP_4) | instskip(SKIP_3) | instid1(VALU_DEP_4)
	v_fmamk_f32 v119, v96, 0xbf7e222b, v137
	v_mul_f32_e32 v122, 0xbf52af12, v97
	v_mul_f32_e32 v126, 0x3f116cb1, v94
	;; [unrolled: 1-line block ×3, first 2 shown]
	v_dual_add_f32 v116, v116, v130 :: v_dual_add_f32 v119, v119, v131
	s_delay_alu instid0(VALU_DEP_4) | instskip(NEXT) | instid1(VALU_DEP_4)
	v_fmamk_f32 v130, v92, 0x3f116cb1, v122
	v_fmamk_f32 v131, v93, 0x3f52af12, v126
	v_fma_f32 v123, 0x3f116cb1, v124, -v123
	v_mul_f32_e32 v140, 0x3eedf032, v89
	v_fmac_f32_e32 v127, 0x3f52af12, v120
	s_delay_alu instid0(VALU_DEP_4)
	v_dual_add_f32 v130, v130, v116 :: v_dual_add_f32 v119, v131, v119
	v_fmamk_f32 v131, v51, 0xbf788fa5, v138
	v_add_f32_e32 v116, v123, v117
	v_fma_f32 v129, 0x3df6dbef, v95, -v129
	v_mul_f32_e32 v139, 0xbf788fa5, v90
	v_add_f32_e32 v117, v127, v118
	v_dual_add_f32 v123, v131, v130 :: v_dual_fmamk_f32 v130, v49, 0x3f62ad3f, v140
	v_fma_f32 v122, 0x3f116cb1, v92, -v122
	s_delay_alu instid0(VALU_DEP_4) | instskip(SKIP_1) | instid1(VALU_DEP_4)
	v_fmamk_f32 v141, v88, 0xbe750f2a, v139
	v_mul_f32_e32 v142, 0x3f62ad3f, v50
	v_dual_mul_f32 v127, 0xbf6f5d39, v121 :: v_dual_add_f32 v118, v130, v123
	v_add_f32_e32 v123, v129, v132
	s_delay_alu instid0(VALU_DEP_4) | instskip(NEXT) | instid1(VALU_DEP_4)
	v_add_f32_e32 v119, v141, v119
	v_fmamk_f32 v131, v48, 0xbeedf032, v142
	v_mul_f32_e32 v99, 0x3eedf032, v99
	s_delay_alu instid0(VALU_DEP_4) | instskip(SKIP_1) | instid1(VALU_DEP_4)
	v_dual_fmac_f32 v137, 0x3f7e222b, v96 :: v_dual_add_f32 v122, v122, v123
	v_fma_f32 v123, 0xbf788fa5, v51, -v138
	v_add_f32_e32 v119, v131, v119
	v_fmamk_f32 v131, v124, 0xbeb58ec6, v127
	v_mul_f32_e32 v94, 0xbf3f9e67, v94
	s_delay_alu instid0(VALU_DEP_4) | instskip(SKIP_3) | instid1(VALU_DEP_3)
	v_dual_mul_f32 v91, 0x3f52af12, v91 :: v_dual_add_f32 v122, v123, v122
	v_fma_f32 v123, 0x3f62ad3f, v49, -v140
	v_dual_mul_f32 v90, 0x3f116cb1, v90 :: v_dual_add_f32 v129, v137, v133
	v_fmac_f32_e32 v126, 0xbf52af12, v93
	v_dual_mul_f32 v89, 0xbf6f5d39, v89 :: v_dual_add_f32 v122, v123, v122
	v_fma_f32 v123, 0xbeb58ec6, v124, -v127
	v_mul_f32_e32 v127, 0x3f62ad3f, v98
	v_mul_f32_e32 v50, 0xbeb58ec6, v50
	v_dual_add_f32 v126, v126, v129 :: v_dual_fmac_f32 v139, 0x3e750f2a, v88
	s_delay_alu instid0(VALU_DEP_4) | instskip(SKIP_4) | instid1(VALU_DEP_4)
	v_add_f32_e32 v98, v123, v122
	v_fmamk_f32 v122, v95, 0x3f62ad3f, v99
	v_fma_f32 v95, 0x3f62ad3f, v95, -v99
	v_fmamk_f32 v99, v96, 0xbeedf032, v127
	v_fmac_f32_e32 v127, 0x3eedf032, v96
	v_dual_mul_f32 v96, 0xbf29c268, v97 :: v_dual_add_f32 v97, v122, v134
	s_delay_alu instid0(VALU_DEP_4) | instskip(NEXT) | instid1(VALU_DEP_4)
	v_add_f32_e32 v95, v95, v128
	v_add_f32_e32 v99, v99, v135
	s_delay_alu instid0(VALU_DEP_3) | instskip(SKIP_4) | instid1(VALU_DEP_4)
	v_dual_add_f32 v123, v127, v136 :: v_dual_fmamk_f32 v122, v92, 0xbf3f9e67, v96
	v_fmamk_f32 v127, v93, 0x3f29c268, v94
	v_fma_f32 v92, 0xbf3f9e67, v92, -v96
	v_fmac_f32_e32 v94, 0xbf29c268, v93
	v_mul_f32_e32 v130, 0xbeb58ec6, v125
	v_dual_add_f32 v93, v122, v97 :: v_dual_add_f32 v96, v127, v99
	s_delay_alu instid0(VALU_DEP_4) | instskip(NEXT) | instid1(VALU_DEP_4)
	v_add_f32_e32 v92, v92, v95
	v_dual_add_f32 v94, v94, v123 :: v_dual_fmamk_f32 v95, v51, 0x3f116cb1, v91
	v_fma_f32 v51, 0x3f116cb1, v51, -v91
	v_fmamk_f32 v91, v88, 0xbf52af12, v90
	v_fmac_f32_e32 v90, 0x3f52af12, v88
	v_fmac_f32_e32 v142, 0x3eedf032, v48
	v_dual_add_f32 v88, v95, v93 :: v_dual_fmamk_f32 v93, v49, 0xbeb58ec6, v89
	s_delay_alu instid0(VALU_DEP_4) | instskip(NEXT) | instid1(VALU_DEP_4)
	v_add_f32_e32 v91, v91, v96
	v_dual_add_f32 v51, v51, v92 :: v_dual_add_f32 v90, v90, v94
	v_fmamk_f32 v92, v48, 0x3f6f5d39, v50
	v_fma_f32 v49, 0xbeb58ec6, v49, -v89
	v_fmac_f32_e32 v50, 0xbf6f5d39, v48
	v_mul_f32_e32 v48, 0x3f7e222b, v121
	v_dual_mul_f32 v89, 0x3df6dbef, v125 :: v_dual_add_f32 v126, v139, v126
	v_dual_fmamk_f32 v129, v120, 0x3f6f5d39, v130 :: v_dual_add_f32 v88, v93, v88
	v_add_f32_e32 v91, v92, v91
	v_dual_add_f32 v51, v49, v51 :: v_dual_add_f32 v90, v50, v90
	v_fmamk_f32 v49, v124, 0x3df6dbef, v48
	v_fmamk_f32 v50, v120, 0xbf7e222b, v89
	v_fma_f32 v92, 0x3df6dbef, v124, -v48
	v_dual_fmac_f32 v89, 0x3f7e222b, v120 :: v_dual_add_f32 v126, v142, v126
	v_fmac_f32_e32 v130, 0xbf6f5d39, v120
	v_dual_add_f32 v118, v131, v118 :: v_dual_add_f32 v119, v129, v119
	v_dual_add_f32 v48, v49, v88 :: v_dual_add_f32 v49, v50, v91
	s_delay_alu instid0(VALU_DEP_4) | instskip(NEXT) | instid1(VALU_DEP_4)
	v_dual_add_f32 v50, v92, v51 :: v_dual_add_f32 v51, v89, v90
	v_add_f32_e32 v99, v130, v126
	ds_store_2addr_b64 v86, v[100:101], v[102:103] offset1:1
	ds_store_2addr_b64 v86, v[106:107], v[110:111] offset0:2 offset1:3
	ds_store_2addr_b64 v86, v[114:115], v[118:119] offset0:4 offset1:5
	;; [unrolled: 1-line block ×5, first 2 shown]
	ds_store_b64 v86, v[104:105] offset:96
	global_wb scope:SCOPE_SE
	s_wait_dscnt 0x0
	s_barrier_signal -1
	s_barrier_wait -1
	global_inv scope:SCOPE_SE
	ds_load_2addr_b64 v[48:51], v79 offset1:169
	ds_load_2addr_b64 v[88:91], v85 offset0:82 offset1:251
	ds_load_2addr_b64 v[92:95], v84 offset0:36 offset1:205
	;; [unrolled: 1-line block ×5, first 2 shown]
	ds_load_b64 v[108:109], v79 offset:16224
	global_wb scope:SCOPE_SE
	s_wait_dscnt 0x0
	s_barrier_signal -1
	s_barrier_wait -1
	global_inv scope:SCOPE_SE
	v_mul_f32_e32 v86, v21, v51
	v_dual_mul_f32 v21, v21, v50 :: v_dual_mul_f32 v110, v23, v89
	s_delay_alu instid0(VALU_DEP_2) | instskip(SKIP_1) | instid1(VALU_DEP_3)
	v_dual_mul_f32 v23, v23, v88 :: v_dual_fmac_f32 v86, v20, v50
	v_mul_f32_e32 v50, v17, v91
	v_fma_f32 v20, v20, v51, -v21
	s_delay_alu instid0(VALU_DEP_4) | instskip(NEXT) | instid1(VALU_DEP_4)
	v_fmac_f32_e32 v110, v22, v88
	v_fma_f32 v21, v22, v89, -v23
	v_dual_mul_f32 v22, v17, v90 :: v_dual_mul_f32 v23, v19, v93
	v_dual_mul_f32 v19, v19, v92 :: v_dual_fmac_f32 v50, v16, v90
	v_mul_f32_e32 v17, v9, v95
	s_delay_alu instid0(VALU_DEP_3) | instskip(NEXT) | instid1(VALU_DEP_4)
	v_fma_f32 v22, v16, v91, -v22
	v_dual_mul_f32 v16, v9, v94 :: v_dual_fmac_f32 v23, v18, v92
	s_delay_alu instid0(VALU_DEP_4)
	v_fma_f32 v18, v18, v93, -v19
	v_mul_f32_e32 v9, v11, v97
	v_mul_f32_e32 v11, v11, v96
	v_add_f32_e32 v19, v48, v86
	v_add_f32_e32 v51, v49, v20
	v_fmac_f32_e32 v17, v8, v94
	v_fmac_f32_e32 v9, v10, v96
	v_fma_f32 v10, v10, v97, -v11
	v_add_f32_e32 v11, v19, v110
	v_add_f32_e32 v19, v51, v21
	v_fma_f32 v16, v8, v95, -v16
	v_mul_f32_e32 v8, v1, v99
	v_mul_f32_e32 v1, v1, v98
	v_add_f32_e32 v88, v11, v50
	v_add_f32_e32 v19, v19, v22
	s_delay_alu instid0(VALU_DEP_4) | instskip(NEXT) | instid1(VALU_DEP_4)
	v_dual_mul_f32 v51, v3, v101 :: v_dual_fmac_f32 v8, v0, v98
	v_fma_f32 v11, v0, v99, -v1
	s_delay_alu instid0(VALU_DEP_4) | instskip(NEXT) | instid1(VALU_DEP_4)
	v_dual_mul_f32 v0, v3, v100 :: v_dual_add_f32 v1, v88, v23
	v_add_f32_e32 v3, v19, v18
	s_delay_alu instid0(VALU_DEP_4) | instskip(SKIP_1) | instid1(VALU_DEP_4)
	v_fmac_f32_e32 v51, v2, v100
	v_mul_f32_e32 v19, v13, v103
	v_fma_f32 v2, v2, v101, -v0
	v_mul_f32_e32 v0, v13, v102
	v_add_f32_e32 v1, v1, v17
	v_add_f32_e32 v3, v3, v16
	v_fmac_f32_e32 v19, v12, v102
	v_mul_f32_e32 v13, v15, v105
	v_fma_f32 v12, v12, v103, -v0
	s_delay_alu instid0(VALU_DEP_4) | instskip(SKIP_1) | instid1(VALU_DEP_4)
	v_dual_add_f32 v0, v1, v9 :: v_dual_add_f32 v1, v3, v10
	v_mul_f32_e32 v3, v15, v104
	v_fmac_f32_e32 v13, v14, v104
	s_delay_alu instid0(VALU_DEP_3) | instskip(NEXT) | instid1(VALU_DEP_4)
	v_dual_mul_f32 v15, v5, v107 :: v_dual_add_f32 v0, v0, v8
	v_add_f32_e32 v1, v1, v11
	s_delay_alu instid0(VALU_DEP_4) | instskip(SKIP_1) | instid1(VALU_DEP_4)
	v_fma_f32 v3, v14, v105, -v3
	v_mul_f32_e32 v14, v7, v108
	v_dual_mul_f32 v7, v7, v109 :: v_dual_add_f32 v0, v0, v51
	s_delay_alu instid0(VALU_DEP_4) | instskip(SKIP_1) | instid1(VALU_DEP_4)
	v_add_f32_e32 v1, v1, v2
	v_mul_f32_e32 v5, v5, v106
	v_fma_f32 v14, v6, v109, -v14
	s_delay_alu instid0(VALU_DEP_4) | instskip(SKIP_1) | instid1(VALU_DEP_3)
	v_dual_fmac_f32 v7, v6, v108 :: v_dual_add_f32 v0, v0, v19
	v_fmac_f32_e32 v15, v4, v106
	v_dual_add_f32 v1, v1, v12 :: v_dual_sub_f32 v6, v20, v14
	v_fma_f32 v4, v4, v107, -v5
	s_delay_alu instid0(VALU_DEP_4) | instskip(NEXT) | instid1(VALU_DEP_3)
	v_dual_add_f32 v0, v0, v13 :: v_dual_add_f32 v5, v86, v7
	v_dual_add_f32 v1, v1, v3 :: v_dual_mul_f32 v88, 0xbeedf032, v6
	v_add_f32_e32 v20, v20, v14
	s_delay_alu instid0(VALU_DEP_3) | instskip(NEXT) | instid1(VALU_DEP_3)
	v_dual_add_f32 v0, v0, v15 :: v_dual_sub_f32 v107, v21, v4
	v_add_f32_e32 v1, v1, v4
	s_delay_alu instid0(VALU_DEP_4) | instskip(NEXT) | instid1(VALU_DEP_4)
	v_dual_fmamk_f32 v89, v5, 0x3f62ad3f, v88 :: v_dual_sub_f32 v86, v86, v7
	v_mul_f32_e32 v90, 0x3f62ad3f, v20
	s_delay_alu instid0(VALU_DEP_4) | instskip(NEXT) | instid1(VALU_DEP_3)
	v_dual_add_f32 v0, v0, v7 :: v_dual_mul_f32 v91, 0x3f116cb1, v20
	v_add_f32_e32 v7, v48, v89
	v_mul_f32_e32 v89, 0xbf52af12, v6
	v_mul_f32_e32 v94, 0xbf7e222b, v6
	;; [unrolled: 1-line block ×8, first 2 shown]
	v_dual_mul_f32 v20, 0xbf788fa5, v20 :: v_dual_add_f32 v109, v110, v15
	v_dual_mul_f32 v111, 0xbf52af12, v107 :: v_dual_add_f32 v4, v21, v4
	v_dual_add_f32 v1, v1, v14 :: v_dual_fmamk_f32 v14, v86, 0x3eedf032, v90
	v_fma_f32 v88, 0x3f62ad3f, v5, -v88
	v_fmac_f32_e32 v90, 0xbeedf032, v86
	v_fmamk_f32 v92, v5, 0x3f116cb1, v89
	v_fmamk_f32 v93, v86, 0x3f52af12, v91
	v_fma_f32 v89, 0x3f116cb1, v5, -v89
	v_fmac_f32_e32 v91, 0xbf52af12, v86
	v_fmamk_f32 v95, v5, 0x3df6dbef, v94
	v_fmamk_f32 v98, v86, 0x3f7e222b, v96
	;; [unrolled: 4-line block ×5, first 2 shown]
	v_fma_f32 v5, 0xbf788fa5, v5, -v6
	v_fmac_f32_e32 v20, 0xbe750f2a, v86
	v_dual_sub_f32 v6, v110, v15 :: v_dual_fmamk_f32 v15, v109, 0x3f116cb1, v111
	v_dual_mul_f32 v21, 0x3f116cb1, v4 :: v_dual_add_f32 v14, v49, v14
	v_add_f32_e32 v88, v48, v88
	v_add_f32_e32 v90, v49, v90
	v_dual_add_f32 v92, v48, v92 :: v_dual_add_f32 v93, v49, v93
	v_add_f32_e32 v89, v48, v89
	v_add_f32_e32 v91, v49, v91
	v_dual_add_f32 v95, v48, v95 :: v_dual_add_f32 v98, v49, v98
	v_add_f32_e32 v94, v48, v94
	v_dual_add_f32 v96, v49, v96 :: v_dual_add_f32 v99, v48, v99
	;; [unrolled: 2-line block ×3, first 2 shown]
	v_dual_add_f32 v104, v48, v104 :: v_dual_add_f32 v105, v49, v105
	v_dual_add_f32 v102, v48, v102 :: v_dual_add_f32 v103, v49, v103
	v_add_f32_e32 v106, v48, v106
	v_dual_add_f32 v86, v49, v108 :: v_dual_add_f32 v5, v48, v5
	v_dual_add_f32 v20, v49, v20 :: v_dual_add_f32 v7, v15, v7
	v_fmamk_f32 v15, v6, 0x3f52af12, v21
	v_mul_f32_e32 v48, 0xbf6f5d39, v107
	v_fma_f32 v49, 0x3f116cb1, v109, -v111
	v_fmac_f32_e32 v21, 0xbf52af12, v6
	v_mul_f32_e32 v108, 0xbeb58ec6, v4
	s_delay_alu instid0(VALU_DEP_4) | instskip(NEXT) | instid1(VALU_DEP_4)
	v_dual_add_f32 v14, v15, v14 :: v_dual_fmamk_f32 v15, v109, 0xbeb58ec6, v48
	v_add_f32_e32 v49, v49, v88
	s_delay_alu instid0(VALU_DEP_3) | instskip(NEXT) | instid1(VALU_DEP_3)
	v_dual_add_f32 v21, v21, v90 :: v_dual_fmamk_f32 v88, v6, 0x3f6f5d39, v108
	v_dual_mul_f32 v90, 0xbe750f2a, v107 :: v_dual_add_f32 v15, v15, v92
	v_fma_f32 v48, 0xbeb58ec6, v109, -v48
	v_fmac_f32_e32 v108, 0xbf6f5d39, v6
	s_delay_alu instid0(VALU_DEP_4) | instskip(NEXT) | instid1(VALU_DEP_4)
	v_add_f32_e32 v88, v88, v93
	v_dual_fmamk_f32 v92, v109, 0xbf788fa5, v90 :: v_dual_mul_f32 v93, 0xbf788fa5, v4
	s_delay_alu instid0(VALU_DEP_4) | instskip(NEXT) | instid1(VALU_DEP_4)
	v_add_f32_e32 v48, v48, v89
	v_add_f32_e32 v89, v108, v91
	v_mul_f32_e32 v91, 0x3f29c268, v107
	s_delay_alu instid0(VALU_DEP_4) | instskip(SKIP_3) | instid1(VALU_DEP_4)
	v_dual_add_f32 v92, v92, v95 :: v_dual_fmamk_f32 v95, v6, 0x3e750f2a, v93
	v_fmac_f32_e32 v93, 0xbe750f2a, v6
	v_mul_f32_e32 v110, 0xbf3f9e67, v4
	v_fma_f32 v90, 0xbf788fa5, v109, -v90
	v_dual_fmamk_f32 v108, v109, 0xbf3f9e67, v91 :: v_dual_add_f32 v95, v95, v98
	s_delay_alu instid0(VALU_DEP_3) | instskip(SKIP_1) | instid1(VALU_DEP_4)
	v_dual_add_f32 v93, v93, v96 :: v_dual_fmamk_f32 v96, v6, 0xbf29c268, v110
	v_mul_f32_e32 v98, 0x3f7e222b, v107
	v_add_f32_e32 v90, v90, v94
	s_delay_alu instid0(VALU_DEP_4)
	v_add_f32_e32 v94, v108, v99
	v_fma_f32 v91, 0xbf3f9e67, v109, -v91
	v_dual_mul_f32 v99, 0x3df6dbef, v4 :: v_dual_add_f32 v96, v96, v101
	v_fmamk_f32 v101, v109, 0x3df6dbef, v98
	v_mul_f32_e32 v107, 0x3eedf032, v107
	v_fma_f32 v98, 0x3df6dbef, v109, -v98
	v_add_f32_e32 v91, v91, v97
	v_fmamk_f32 v97, v6, 0xbf7e222b, v99
	v_add_f32_e32 v101, v101, v104
	v_fmac_f32_e32 v99, 0x3f7e222b, v6
	v_fmamk_f32 v104, v109, 0x3f62ad3f, v107
	v_add_f32_e32 v98, v98, v102
	v_dual_sub_f32 v102, v22, v3 :: v_dual_add_f32 v97, v97, v105
	s_delay_alu instid0(VALU_DEP_4) | instskip(NEXT) | instid1(VALU_DEP_4)
	v_dual_mul_f32 v4, 0x3f62ad3f, v4 :: v_dual_add_f32 v99, v99, v103
	v_add_f32_e32 v103, v104, v106
	s_delay_alu instid0(VALU_DEP_3) | instskip(SKIP_1) | instid1(VALU_DEP_4)
	v_dual_add_f32 v105, v50, v13 :: v_dual_mul_f32 v106, 0xbf7e222b, v102
	v_dual_add_f32 v3, v22, v3 :: v_dual_fmac_f32 v110, 0x3f29c268, v6
	v_fmamk_f32 v104, v6, 0xbeedf032, v4
	v_fmac_f32_e32 v4, 0x3eedf032, v6
	s_delay_alu instid0(VALU_DEP_4) | instskip(NEXT) | instid1(VALU_DEP_4)
	v_dual_sub_f32 v6, v50, v13 :: v_dual_fmamk_f32 v13, v105, 0x3df6dbef, v106
	v_mul_f32_e32 v50, 0x3df6dbef, v3
	v_fma_f32 v22, 0x3f62ad3f, v109, -v107
	s_delay_alu instid0(VALU_DEP_4) | instskip(NEXT) | instid1(VALU_DEP_4)
	v_add_f32_e32 v4, v4, v20
	v_dual_mul_f32 v20, 0xbe750f2a, v102 :: v_dual_add_f32 v7, v13, v7
	s_delay_alu instid0(VALU_DEP_4) | instskip(NEXT) | instid1(VALU_DEP_4)
	v_dual_fmamk_f32 v13, v6, 0x3f7e222b, v50 :: v_dual_add_f32 v86, v104, v86
	v_add_f32_e32 v5, v22, v5
	v_fma_f32 v22, 0x3df6dbef, v105, -v106
	v_fmac_f32_e32 v50, 0xbf7e222b, v6
	s_delay_alu instid0(VALU_DEP_4) | instskip(SKIP_1) | instid1(VALU_DEP_4)
	v_dual_mul_f32 v104, 0xbf788fa5, v3 :: v_dual_add_f32 v13, v13, v14
	v_fmamk_f32 v14, v105, 0xbf788fa5, v20
	v_add_f32_e32 v22, v22, v49
	s_delay_alu instid0(VALU_DEP_4) | instskip(NEXT) | instid1(VALU_DEP_4)
	v_add_f32_e32 v21, v50, v21
	v_fmamk_f32 v49, v6, 0x3e750f2a, v104
	v_mul_f32_e32 v50, 0x3f6f5d39, v102
	v_add_f32_e32 v14, v14, v15
	v_fma_f32 v15, 0xbf788fa5, v105, -v20
	v_fmac_f32_e32 v104, 0xbe750f2a, v6
	v_add_f32_e32 v20, v49, v88
	v_dual_fmamk_f32 v49, v105, 0xbeb58ec6, v50 :: v_dual_mul_f32 v88, 0xbeb58ec6, v3
	s_delay_alu instid0(VALU_DEP_3) | instskip(SKIP_1) | instid1(VALU_DEP_3)
	v_dual_add_f32 v15, v15, v48 :: v_dual_add_f32 v48, v104, v89
	v_mul_f32_e32 v89, 0x3eedf032, v102
	v_dual_add_f32 v49, v49, v92 :: v_dual_fmamk_f32 v92, v6, 0xbf6f5d39, v88
	v_fma_f32 v50, 0xbeb58ec6, v105, -v50
	v_fmac_f32_e32 v88, 0x3f6f5d39, v6
	s_delay_alu instid0(VALU_DEP_4) | instskip(SKIP_4) | instid1(VALU_DEP_4)
	v_fmamk_f32 v104, v105, 0x3f62ad3f, v89
	v_mul_f32_e32 v106, 0x3f62ad3f, v3
	v_add_f32_e32 v92, v92, v95
	v_add_f32_e32 v50, v50, v90
	;; [unrolled: 1-line block ×3, first 2 shown]
	v_dual_add_f32 v90, v104, v94 :: v_dual_fmamk_f32 v93, v6, 0xbeedf032, v106
	v_mul_f32_e32 v94, 0xbf52af12, v102
	v_fma_f32 v89, 0x3f62ad3f, v105, -v89
	v_mul_f32_e32 v95, 0x3f116cb1, v3
	s_delay_alu instid0(VALU_DEP_4) | instskip(NEXT) | instid1(VALU_DEP_4)
	v_dual_mul_f32 v102, 0xbf29c268, v102 :: v_dual_add_f32 v93, v93, v96
	v_fmamk_f32 v96, v105, 0x3f116cb1, v94
	s_delay_alu instid0(VALU_DEP_4) | instskip(NEXT) | instid1(VALU_DEP_4)
	v_add_f32_e32 v89, v89, v91
	v_fmamk_f32 v91, v6, 0x3f52af12, v95
	v_fma_f32 v94, 0x3f116cb1, v105, -v94
	v_fmac_f32_e32 v106, 0x3eedf032, v6
	v_dual_add_f32 v96, v96, v101 :: v_dual_fmac_f32 v95, 0xbf52af12, v6
	s_delay_alu instid0(VALU_DEP_4) | instskip(NEXT) | instid1(VALU_DEP_4)
	v_add_f32_e32 v91, v91, v97
	v_dual_fmamk_f32 v97, v105, 0xbf3f9e67, v102 :: v_dual_add_f32 v94, v94, v98
	v_sub_f32_e32 v98, v18, v12
	v_dual_add_f32 v12, v18, v12 :: v_dual_mul_f32 v3, 0xbf3f9e67, v3
	s_delay_alu instid0(VALU_DEP_3) | instskip(SKIP_1) | instid1(VALU_DEP_4)
	v_add_f32_e32 v97, v97, v103
	v_fma_f32 v18, 0xbf3f9e67, v105, -v102
	v_mul_f32_e32 v103, 0xbf6f5d39, v98
	s_delay_alu instid0(VALU_DEP_4) | instskip(SKIP_3) | instid1(VALU_DEP_4)
	v_dual_mul_f32 v102, 0x3df6dbef, v12 :: v_dual_add_f32 v101, v23, v19
	v_add_f32_e32 v95, v95, v99
	v_fmamk_f32 v99, v6, 0x3f29c268, v3
	v_dual_fmac_f32 v3, 0xbf29c268, v6 :: v_dual_sub_f32 v6, v23, v19
	v_fmamk_f32 v19, v101, 0xbeb58ec6, v103
	v_mul_f32_e32 v23, 0xbeb58ec6, v12
	v_add_f32_e32 v5, v18, v5
	s_delay_alu instid0(VALU_DEP_4) | instskip(NEXT) | instid1(VALU_DEP_3)
	v_dual_add_f32 v3, v3, v4 :: v_dual_mul_f32 v18, 0x3f29c268, v98
	v_dual_add_f32 v4, v19, v7 :: v_dual_fmamk_f32 v7, v6, 0x3f6f5d39, v23
	v_add_f32_e32 v86, v99, v86
	v_fma_f32 v19, 0xbeb58ec6, v101, -v103
	v_fmac_f32_e32 v23, 0xbf6f5d39, v6
	v_mul_f32_e32 v99, 0xbf3f9e67, v12
	v_add_f32_e32 v7, v7, v13
	v_fmamk_f32 v13, v101, 0xbf3f9e67, v18
	v_add_f32_e32 v19, v19, v22
	s_delay_alu instid0(VALU_DEP_4) | instskip(SKIP_1) | instid1(VALU_DEP_4)
	v_dual_add_f32 v21, v23, v21 :: v_dual_fmamk_f32 v22, v6, 0xbf29c268, v99
	v_mul_f32_e32 v23, 0x3eedf032, v98
	v_add_f32_e32 v13, v13, v14
	v_fma_f32 v14, 0xbf3f9e67, v101, -v18
	s_delay_alu instid0(VALU_DEP_4) | instskip(NEXT) | instid1(VALU_DEP_4)
	v_dual_fmac_f32 v99, 0x3f29c268, v6 :: v_dual_add_f32 v18, v22, v20
	v_fmamk_f32 v20, v101, 0x3f62ad3f, v23
	v_mul_f32_e32 v22, 0x3f62ad3f, v12
	s_delay_alu instid0(VALU_DEP_3) | instskip(SKIP_1) | instid1(VALU_DEP_3)
	v_dual_add_f32 v14, v14, v15 :: v_dual_add_f32 v15, v99, v48
	v_mul_f32_e32 v48, 0xbf7e222b, v98
	v_dual_add_f32 v20, v20, v49 :: v_dual_fmamk_f32 v49, v6, 0xbeedf032, v22
	v_fma_f32 v23, 0x3f62ad3f, v101, -v23
	v_fmac_f32_e32 v22, 0x3eedf032, v6
	s_delay_alu instid0(VALU_DEP_4) | instskip(SKIP_2) | instid1(VALU_DEP_4)
	v_fmamk_f32 v99, v101, 0x3df6dbef, v48
	v_fma_f32 v48, 0x3df6dbef, v101, -v48
	v_add_f32_e32 v49, v49, v92
	v_dual_add_f32 v23, v23, v50 :: v_dual_add_f32 v22, v22, v88
	s_delay_alu instid0(VALU_DEP_4)
	v_add_f32_e32 v50, v99, v90
	v_fmamk_f32 v88, v6, 0x3f7e222b, v102
	v_mul_f32_e32 v90, 0x3e750f2a, v98
	v_mul_f32_e32 v92, 0xbf788fa5, v12
	v_add_f32_e32 v48, v48, v89
	v_mul_f32_e32 v98, 0x3f52af12, v98
	s_delay_alu instid0(VALU_DEP_4) | instskip(NEXT) | instid1(VALU_DEP_4)
	v_dual_add_f32 v88, v88, v93 :: v_dual_fmamk_f32 v93, v101, 0xbf788fa5, v90
	v_fmamk_f32 v89, v6, 0xbe750f2a, v92
	v_fma_f32 v90, 0xbf788fa5, v101, -v90
	v_fmac_f32_e32 v92, 0x3e750f2a, v6
	v_mul_f32_e32 v12, 0x3f116cb1, v12
	s_delay_alu instid0(VALU_DEP_4) | instskip(NEXT) | instid1(VALU_DEP_4)
	v_dual_fmac_f32 v102, 0xbf7e222b, v6 :: v_dual_add_f32 v89, v89, v91
	v_dual_fmamk_f32 v91, v101, 0x3f116cb1, v98 :: v_dual_add_f32 v90, v90, v94
	v_sub_f32_e32 v94, v16, v2
	v_dual_add_f32 v2, v16, v2 :: v_dual_add_f32 v93, v93, v96
	s_delay_alu instid0(VALU_DEP_3) | instskip(SKIP_1) | instid1(VALU_DEP_4)
	v_dual_add_f32 v92, v92, v95 :: v_dual_add_f32 v91, v91, v97
	v_dual_fmamk_f32 v95, v6, 0xbf52af12, v12 :: v_dual_add_f32 v96, v17, v51
	v_mul_f32_e32 v97, 0xbf29c268, v94
	v_fma_f32 v16, 0x3f116cb1, v101, -v98
	v_fmac_f32_e32 v12, 0x3f52af12, v6
	v_dual_sub_f32 v6, v17, v51 :: v_dual_mul_f32 v51, 0xbf3f9e67, v2
	s_delay_alu instid0(VALU_DEP_4) | instskip(NEXT) | instid1(VALU_DEP_4)
	v_fmamk_f32 v17, v96, 0xbf3f9e67, v97
	v_add_f32_e32 v5, v16, v5
	s_delay_alu instid0(VALU_DEP_4) | instskip(NEXT) | instid1(VALU_DEP_4)
	v_dual_add_f32 v3, v12, v3 :: v_dual_mul_f32 v16, 0x3f7e222b, v94
	v_fmamk_f32 v12, v6, 0x3f29c268, v51
	v_add_f32_e32 v86, v95, v86
	v_add_f32_e32 v4, v17, v4
	v_fma_f32 v17, 0xbf3f9e67, v96, -v97
	v_fmac_f32_e32 v51, 0xbf29c268, v6
	v_mul_f32_e32 v95, 0x3df6dbef, v2
	v_add_f32_e32 v7, v12, v7
	s_delay_alu instid0(VALU_DEP_4) | instskip(NEXT) | instid1(VALU_DEP_4)
	v_dual_fmamk_f32 v12, v96, 0x3df6dbef, v16 :: v_dual_add_f32 v17, v17, v19
	v_add_f32_e32 v19, v51, v21
	s_delay_alu instid0(VALU_DEP_4) | instskip(NEXT) | instid1(VALU_DEP_3)
	v_fmamk_f32 v21, v6, 0xbf7e222b, v95
	v_dual_mul_f32 v51, 0xbf52af12, v94 :: v_dual_add_f32 v12, v12, v13
	v_fma_f32 v13, 0x3df6dbef, v96, -v16
	v_fmac_f32_e32 v95, 0x3f7e222b, v6
	s_delay_alu instid0(VALU_DEP_4) | instskip(NEXT) | instid1(VALU_DEP_4)
	v_add_f32_e32 v16, v21, v18
	v_dual_fmamk_f32 v18, v96, 0x3f116cb1, v51 :: v_dual_mul_f32 v21, 0x3f116cb1, v2
	s_delay_alu instid0(VALU_DEP_3) | instskip(NEXT) | instid1(VALU_DEP_2)
	v_dual_add_f32 v13, v13, v14 :: v_dual_add_f32 v14, v95, v15
	v_dual_mul_f32 v15, 0x3e750f2a, v94 :: v_dual_add_f32 v18, v18, v20
	s_delay_alu instid0(VALU_DEP_3) | instskip(SKIP_2) | instid1(VALU_DEP_4)
	v_fmamk_f32 v20, v6, 0x3f52af12, v21
	v_fmac_f32_e32 v21, 0xbf52af12, v6
	v_mul_f32_e32 v97, 0xbf788fa5, v2
	v_dual_fmamk_f32 v95, v96, 0xbf788fa5, v15 :: v_dual_add_f32 v100, v110, v100
	v_fma_f32 v51, 0x3f116cb1, v96, -v51
	s_delay_alu instid0(VALU_DEP_4) | instskip(NEXT) | instid1(VALU_DEP_3)
	v_dual_add_f32 v20, v20, v49 :: v_dual_add_f32 v21, v21, v22
	v_dual_add_f32 v22, v95, v50 :: v_dual_fmamk_f32 v49, v6, 0xbe750f2a, v97
	v_mul_f32_e32 v50, 0x3eedf032, v94
	s_delay_alu instid0(VALU_DEP_4) | instskip(SKIP_2) | instid1(VALU_DEP_4)
	v_dual_add_f32 v100, v106, v100 :: v_dual_add_f32 v23, v51, v23
	v_fma_f32 v15, 0xbf788fa5, v96, -v15
	v_mul_f32_e32 v51, 0x3f62ad3f, v2
	v_dual_add_f32 v49, v49, v88 :: v_dual_fmamk_f32 v88, v96, 0x3f62ad3f, v50
	v_fma_f32 v50, 0x3f62ad3f, v96, -v50
	v_add_f32_e32 v99, v102, v100
	v_dual_fmac_f32 v97, 0x3e750f2a, v6 :: v_dual_add_f32 v48, v15, v48
	v_fmamk_f32 v15, v6, 0xbeedf032, v51
	v_mul_f32_e32 v94, 0xbf6f5d39, v94
	v_fmac_f32_e32 v51, 0x3eedf032, v6
	v_add_f32_e32 v50, v50, v90
	v_sub_f32_e32 v90, v10, v11
	v_dual_add_f32 v95, v97, v99 :: v_dual_add_f32 v88, v88, v93
	v_add_f32_e32 v89, v15, v89
	v_dual_fmamk_f32 v15, v96, 0xbeb58ec6, v94 :: v_dual_mul_f32 v2, 0xbeb58ec6, v2
	v_add_f32_e32 v51, v51, v92
	v_dual_add_f32 v92, v9, v8 :: v_dual_mul_f32 v93, 0xbe750f2a, v90
	v_add_f32_e32 v97, v10, v11
	s_delay_alu instid0(VALU_DEP_4)
	v_add_f32_e32 v91, v15, v91
	v_fmamk_f32 v15, v6, 0x3f6f5d39, v2
	v_fma_f32 v10, 0xbeb58ec6, v96, -v94
	v_fmac_f32_e32 v2, 0xbf6f5d39, v6
	v_sub_f32_e32 v94, v9, v8
	v_fmamk_f32 v6, v92, 0xbf788fa5, v93
	v_mul_f32_e32 v8, 0xbf788fa5, v97
	v_dual_mul_f32 v9, 0x3eedf032, v90 :: v_dual_add_f32 v96, v10, v5
	v_add_f32_e32 v98, v2, v3
	s_delay_alu instid0(VALU_DEP_4) | instskip(NEXT) | instid1(VALU_DEP_4)
	v_add_f32_e32 v2, v6, v4
	v_fmamk_f32 v3, v94, 0x3e750f2a, v8
	v_fmac_f32_e32 v8, 0xbe750f2a, v94
	v_mul_f32_e32 v10, 0x3f62ad3f, v97
	v_fmamk_f32 v6, v92, 0x3f62ad3f, v9
	v_mul_f32_e32 v11, 0xbf29c268, v90
	v_add_f32_e32 v86, v15, v86
	v_fma_f32 v4, 0xbf788fa5, v92, -v93
	v_add_f32_e32 v3, v3, v7
	v_add_f32_e32 v5, v8, v19
	v_fmamk_f32 v7, v94, 0xbeedf032, v10
	v_add_f32_e32 v6, v6, v12
	v_fma_f32 v8, 0x3f62ad3f, v92, -v9
	v_fmac_f32_e32 v10, 0x3eedf032, v94
	v_dual_fmamk_f32 v12, v92, 0xbf3f9e67, v11 :: v_dual_mul_f32 v15, 0xbf3f9e67, v97
	v_dual_add_f32 v4, v4, v17 :: v_dual_add_f32 v7, v7, v16
	s_delay_alu instid0(VALU_DEP_3) | instskip(SKIP_1) | instid1(VALU_DEP_4)
	v_dual_add_f32 v8, v8, v13 :: v_dual_add_f32 v9, v10, v14
	v_mul_f32_e32 v16, 0x3f52af12, v90
	v_add_f32_e32 v10, v12, v18
	v_fmamk_f32 v12, v94, 0x3f29c268, v15
	v_fma_f32 v13, 0xbf3f9e67, v92, -v11
	v_fmac_f32_e32 v15, 0xbf29c268, v94
	v_dual_mul_f32 v17, 0x3f116cb1, v97 :: v_dual_fmamk_f32 v14, v92, 0x3f116cb1, v16
	s_delay_alu instid0(VALU_DEP_3) | instskip(NEXT) | instid1(VALU_DEP_3)
	v_dual_add_f32 v11, v12, v20 :: v_dual_add_f32 v12, v13, v23
	v_add_f32_e32 v13, v15, v21
	s_delay_alu instid0(VALU_DEP_3) | instskip(SKIP_3) | instid1(VALU_DEP_4)
	v_fmamk_f32 v15, v94, 0xbf52af12, v17
	v_mul_f32_e32 v18, 0xbf6f5d39, v90
	v_dual_mul_f32 v21, 0xbeb58ec6, v97 :: v_dual_add_f32 v14, v14, v22
	v_fma_f32 v16, 0x3f116cb1, v92, -v16
	v_add_f32_e32 v15, v15, v49
	s_delay_alu instid0(VALU_DEP_4) | instskip(NEXT) | instid1(VALU_DEP_4)
	v_fmamk_f32 v19, v92, 0xbeb58ec6, v18
	v_fmamk_f32 v20, v94, 0x3f6f5d39, v21
	v_fma_f32 v22, 0xbeb58ec6, v92, -v18
	v_mul_f32_e32 v23, 0x3f7e222b, v90
	v_dual_mul_f32 v49, 0x3df6dbef, v97 :: v_dual_add_f32 v16, v16, v48
	s_delay_alu instid0(VALU_DEP_4) | instskip(NEXT) | instid1(VALU_DEP_4)
	v_dual_add_f32 v18, v19, v88 :: v_dual_add_f32 v19, v20, v89
	v_add_f32_e32 v20, v22, v50
	s_delay_alu instid0(VALU_DEP_4) | instskip(NEXT) | instid1(VALU_DEP_4)
	v_fmamk_f32 v22, v92, 0x3df6dbef, v23
	v_fmamk_f32 v48, v94, 0xbf7e222b, v49
	v_fma_f32 v50, 0x3df6dbef, v92, -v23
	v_fmac_f32_e32 v49, 0x3f7e222b, v94
	v_fmac_f32_e32 v17, 0x3f52af12, v94
	v_dual_fmac_f32 v21, 0xbf6f5d39, v94 :: v_dual_add_f32 v22, v22, v91
	s_delay_alu instid0(VALU_DEP_4) | instskip(NEXT) | instid1(VALU_DEP_4)
	v_dual_add_f32 v23, v48, v86 :: v_dual_add_f32 v48, v50, v96
	v_add_f32_e32 v49, v49, v98
	s_delay_alu instid0(VALU_DEP_4) | instskip(NEXT) | instid1(VALU_DEP_4)
	v_add_f32_e32 v17, v17, v95
	v_add_f32_e32 v21, v21, v51
	ds_store_2addr_b64 v87, v[0:1], v[2:3] offset1:13
	ds_store_2addr_b64 v87, v[6:7], v[10:11] offset0:26 offset1:39
	ds_store_2addr_b64 v87, v[14:15], v[18:19] offset0:52 offset1:65
	;; [unrolled: 1-line block ×5, first 2 shown]
	ds_store_b64 v87, v[4:5] offset:1248
	global_wb scope:SCOPE_SE
	s_wait_dscnt 0x0
	s_barrier_signal -1
	s_barrier_wait -1
	global_inv scope:SCOPE_SE
	ds_load_2addr_b64 v[8:11], v79 offset1:169
	ds_load_2addr_b64 v[0:3], v85 offset0:82 offset1:251
	ds_load_2addr_b64 v[12:15], v84 offset0:36 offset1:205
	;; [unrolled: 1-line block ×5, first 2 shown]
	ds_load_b64 v[86:87], v79 offset:16224
	s_wait_dscnt 0x6
	v_mul_f32_e32 v88, v45, v11
	s_wait_dscnt 0x5
	v_dual_mul_f32 v4, v45, v10 :: v_dual_mul_f32 v45, v47, v1
	s_wait_dscnt 0x4
	v_dual_mul_f32 v5, v47, v0 :: v_dual_mul_f32 v6, v33, v15
	v_fmac_f32_e32 v88, v44, v10
	s_delay_alu instid0(VALU_DEP_3) | instskip(SKIP_3) | instid1(VALU_DEP_4)
	v_dual_mul_f32 v10, v41, v3 :: v_dual_fmac_f32 v45, v46, v0
	v_mul_f32_e32 v0, v41, v2
	v_fma_f32 v11, v44, v11, -v4
	v_fma_f32 v44, v46, v1, -v5
	v_dual_fmac_f32 v10, v40, v2 :: v_dual_mul_f32 v41, v43, v13
	v_mul_f32_e32 v1, v43, v12
	v_fma_f32 v40, v40, v3, -v0
	v_mul_f32_e32 v0, v33, v14
	v_add_f32_e32 v5, v9, v11
	v_fmac_f32_e32 v41, v42, v12
	v_fma_f32 v12, v42, v13, -v1
	v_add_f32_e32 v1, v8, v88
	v_fma_f32 v7, v32, v15, -v0
	s_wait_dscnt 0x3
	v_mul_f32_e32 v0, v35, v16
	v_fmac_f32_e32 v6, v32, v14
	v_dual_mul_f32 v2, v35, v17 :: v_dual_mul_f32 v3, v25, v19
	s_wait_dscnt 0x2
	v_mul_f32_e32 v13, v27, v21
	v_fma_f32 v4, v34, v17, -v0
	v_add_f32_e32 v0, v1, v45
	v_add_f32_e32 v1, v5, v44
	v_dual_mul_f32 v5, v25, v18 :: v_dual_fmac_f32 v2, v34, v16
	v_mul_f32_e32 v14, v27, v20
	s_delay_alu instid0(VALU_DEP_3) | instskip(NEXT) | instid1(VALU_DEP_3)
	v_dual_add_f32 v0, v0, v10 :: v_dual_add_f32 v1, v1, v40
	v_fma_f32 v5, v24, v19, -v5
	v_fmac_f32_e32 v3, v24, v18
	s_delay_alu instid0(VALU_DEP_3) | instskip(NEXT) | instid1(VALU_DEP_4)
	v_dual_fmac_f32 v13, v26, v20 :: v_dual_add_f32 v0, v0, v41
	v_add_f32_e32 v1, v1, v12
	v_fma_f32 v14, v26, v21, -v14
	v_mul_f32_e32 v16, v37, v22
	s_wait_dscnt 0x0
	v_mul_f32_e32 v20, v31, v86
	v_dual_add_f32 v0, v0, v6 :: v_dual_add_f32 v1, v1, v7
	v_mul_f32_e32 v15, v37, v23
	v_fma_f32 v16, v36, v23, -v16
	v_mul_f32_e32 v18, v39, v48
	s_delay_alu instid0(VALU_DEP_4) | instskip(SKIP_3) | instid1(VALU_DEP_4)
	v_dual_add_f32 v0, v0, v2 :: v_dual_add_f32 v1, v1, v4
	v_mul_f32_e32 v21, v31, v87
	v_fma_f32 v20, v30, v87, -v20
	v_fmac_f32_e32 v15, v36, v22
	v_dual_add_f32 v0, v0, v3 :: v_dual_add_f32 v1, v1, v5
	v_mul_f32_e32 v17, v39, v49
	v_fma_f32 v18, v38, v49, -v18
	v_mul_f32_e32 v22, v29, v50
	s_delay_alu instid0(VALU_DEP_4)
	v_dual_add_f32 v0, v0, v13 :: v_dual_add_f32 v1, v1, v14
	v_fmac_f32_e32 v21, v30, v86
	v_sub_f32_e32 v23, v11, v20
	v_fmac_f32_e32 v17, v38, v48
	v_mul_f32_e32 v19, v29, v51
	v_dual_add_f32 v1, v1, v16 :: v_dual_add_f32 v0, v0, v15
	v_fma_f32 v22, v28, v51, -v22
	v_dual_add_f32 v24, v88, v21 :: v_dual_mul_f32 v25, 0xbeedf032, v23
	s_delay_alu instid0(VALU_DEP_3) | instskip(SKIP_2) | instid1(VALU_DEP_4)
	v_add_f32_e32 v1, v1, v18
	v_fmac_f32_e32 v19, v28, v50
	v_dual_add_f32 v0, v0, v17 :: v_dual_add_f32 v11, v11, v20
	v_fmamk_f32 v27, v24, 0x3f62ad3f, v25
	s_delay_alu instid0(VALU_DEP_4) | instskip(SKIP_1) | instid1(VALU_DEP_4)
	v_add_f32_e32 v1, v1, v22
	v_sub_f32_e32 v49, v44, v22
	v_add_f32_e32 v0, v0, v19
	v_sub_f32_e32 v26, v88, v21
	s_delay_alu instid0(VALU_DEP_4)
	v_dual_mul_f32 v28, 0x3f62ad3f, v11 :: v_dual_add_f32 v1, v1, v20
	v_add_f32_e32 v20, v8, v27
	v_mul_f32_e32 v27, 0xbf52af12, v23
	v_mul_f32_e32 v29, 0x3f116cb1, v11
	;; [unrolled: 1-line block ×10, first 2 shown]
	v_dual_add_f32 v51, v45, v19 :: v_dual_mul_f32 v86, 0xbf52af12, v49
	v_add_f32_e32 v22, v44, v22
	v_dual_add_f32 v0, v0, v21 :: v_dual_fmamk_f32 v21, v26, 0x3eedf032, v28
	v_fma_f32 v25, 0x3f62ad3f, v24, -v25
	v_fmac_f32_e32 v28, 0xbeedf032, v26
	v_fmamk_f32 v30, v24, 0x3f116cb1, v27
	v_fmamk_f32 v31, v26, 0x3f52af12, v29
	v_fma_f32 v27, 0x3f116cb1, v24, -v27
	v_fmac_f32_e32 v29, 0xbf52af12, v26
	v_fmamk_f32 v33, v24, 0x3df6dbef, v32
	v_fmamk_f32 v36, v26, 0x3f7e222b, v34
	;; [unrolled: 4-line block ×5, first 2 shown]
	v_fma_f32 v23, 0xbf788fa5, v24, -v23
	v_fmac_f32_e32 v11, 0xbe750f2a, v26
	v_dual_sub_f32 v19, v45, v19 :: v_dual_fmamk_f32 v24, v51, 0x3f116cb1, v86
	v_dual_mul_f32 v26, 0x3f116cb1, v22 :: v_dual_add_f32 v21, v9, v21
	v_dual_add_f32 v25, v8, v25 :: v_dual_add_f32 v28, v9, v28
	v_dual_add_f32 v30, v8, v30 :: v_dual_add_f32 v31, v9, v31
	v_add_f32_e32 v27, v8, v27
	v_add_f32_e32 v29, v9, v29
	v_dual_add_f32 v33, v8, v33 :: v_dual_add_f32 v36, v9, v36
	v_add_f32_e32 v32, v8, v32
	v_dual_add_f32 v34, v9, v34 :: v_dual_add_f32 v37, v8, v37
	;; [unrolled: 2-line block ×3, first 2 shown]
	v_dual_add_f32 v46, v8, v46 :: v_dual_add_f32 v47, v9, v47
	v_dual_add_f32 v42, v8, v42 :: v_dual_add_f32 v43, v9, v43
	v_add_f32_e32 v48, v8, v48
	v_add_f32_e32 v44, v9, v50
	v_add_f32_e32 v8, v8, v23
	v_add_f32_e32 v9, v9, v11
	v_dual_add_f32 v11, v24, v20 :: v_dual_fmamk_f32 v20, v19, 0x3f52af12, v26
	v_mul_f32_e32 v23, 0xbf6f5d39, v49
	v_fma_f32 v24, 0x3f116cb1, v51, -v86
	v_fmac_f32_e32 v26, 0xbf52af12, v19
	s_delay_alu instid0(VALU_DEP_4) | instskip(NEXT) | instid1(VALU_DEP_3)
	v_dual_mul_f32 v45, 0xbeb58ec6, v22 :: v_dual_add_f32 v20, v20, v21
	v_dual_fmamk_f32 v21, v51, 0xbeb58ec6, v23 :: v_dual_add_f32 v24, v24, v25
	s_delay_alu instid0(VALU_DEP_2) | instskip(NEXT) | instid1(VALU_DEP_2)
	v_dual_add_f32 v25, v26, v28 :: v_dual_fmamk_f32 v26, v19, 0x3f6f5d39, v45
	v_dual_mul_f32 v28, 0xbe750f2a, v49 :: v_dual_add_f32 v21, v21, v30
	v_fma_f32 v23, 0xbeb58ec6, v51, -v23
	v_fmac_f32_e32 v45, 0xbf6f5d39, v19
	s_delay_alu instid0(VALU_DEP_4) | instskip(NEXT) | instid1(VALU_DEP_4)
	v_add_f32_e32 v26, v26, v31
	v_dual_fmamk_f32 v30, v51, 0xbf788fa5, v28 :: v_dual_mul_f32 v31, 0xbf788fa5, v22
	s_delay_alu instid0(VALU_DEP_4) | instskip(NEXT) | instid1(VALU_DEP_4)
	v_add_f32_e32 v23, v23, v27
	v_add_f32_e32 v27, v45, v29
	v_mul_f32_e32 v29, 0x3f29c268, v49
	s_delay_alu instid0(VALU_DEP_4)
	v_dual_add_f32 v30, v30, v33 :: v_dual_fmamk_f32 v33, v19, 0x3e750f2a, v31
	v_fmac_f32_e32 v31, 0xbe750f2a, v19
	v_mul_f32_e32 v50, 0xbf3f9e67, v22
	v_fma_f32 v28, 0xbf788fa5, v51, -v28
	v_fmamk_f32 v45, v51, 0xbf3f9e67, v29
	v_add_f32_e32 v33, v33, v36
	v_add_f32_e32 v31, v31, v34
	v_fmamk_f32 v34, v19, 0xbf29c268, v50
	v_mul_f32_e32 v36, 0x3f7e222b, v49
	v_add_f32_e32 v28, v28, v32
	v_add_f32_e32 v32, v45, v37
	v_fma_f32 v29, 0xbf3f9e67, v51, -v29
	v_dual_mul_f32 v37, 0x3df6dbef, v22 :: v_dual_add_f32 v34, v34, v39
	v_fmamk_f32 v39, v51, 0x3df6dbef, v36
	v_mul_f32_e32 v45, 0x3eedf032, v49
	v_fma_f32 v36, 0x3df6dbef, v51, -v36
	v_add_f32_e32 v29, v29, v35
	v_fmamk_f32 v35, v19, 0xbf7e222b, v37
	v_add_f32_e32 v39, v39, v46
	v_fmac_f32_e32 v37, 0x3f7e222b, v19
	v_fmamk_f32 v46, v51, 0x3f62ad3f, v45
	v_add_f32_e32 v36, v36, v42
	v_dual_sub_f32 v42, v40, v18 :: v_dual_add_f32 v35, v35, v47
	s_delay_alu instid0(VALU_DEP_4) | instskip(NEXT) | instid1(VALU_DEP_4)
	v_dual_mul_f32 v22, 0x3f62ad3f, v22 :: v_dual_add_f32 v37, v37, v43
	v_add_f32_e32 v43, v46, v48
	s_delay_alu instid0(VALU_DEP_3)
	v_dual_add_f32 v47, v10, v17 :: v_dual_mul_f32 v48, 0xbf7e222b, v42
	v_add_f32_e32 v18, v40, v18
	v_fmac_f32_e32 v50, 0x3f29c268, v19
	v_fmamk_f32 v46, v19, 0xbeedf032, v22
	v_fmac_f32_e32 v22, 0x3eedf032, v19
	v_dual_sub_f32 v10, v10, v17 :: v_dual_fmamk_f32 v17, v47, 0x3df6dbef, v48
	v_mul_f32_e32 v19, 0x3df6dbef, v18
	v_fma_f32 v40, 0x3f62ad3f, v51, -v45
	s_delay_alu instid0(VALU_DEP_4) | instskip(NEXT) | instid1(VALU_DEP_4)
	v_dual_add_f32 v9, v22, v9 :: v_dual_mul_f32 v22, 0xbe750f2a, v42
	v_add_f32_e32 v11, v17, v11
	s_delay_alu instid0(VALU_DEP_3) | instskip(SKIP_3) | instid1(VALU_DEP_4)
	v_dual_fmamk_f32 v17, v10, 0x3f7e222b, v19 :: v_dual_add_f32 v8, v40, v8
	v_fma_f32 v40, 0x3df6dbef, v47, -v48
	v_fmac_f32_e32 v19, 0xbf7e222b, v10
	v_mul_f32_e32 v45, 0xbf788fa5, v18
	v_dual_add_f32 v17, v17, v20 :: v_dual_fmamk_f32 v20, v47, 0xbf788fa5, v22
	s_delay_alu instid0(VALU_DEP_3) | instskip(NEXT) | instid1(VALU_DEP_3)
	v_dual_add_f32 v24, v40, v24 :: v_dual_add_f32 v19, v19, v25
	v_fmamk_f32 v25, v10, 0x3e750f2a, v45
	v_mul_f32_e32 v40, 0x3f6f5d39, v42
	s_delay_alu instid0(VALU_DEP_4) | instskip(SKIP_2) | instid1(VALU_DEP_4)
	v_add_f32_e32 v20, v20, v21
	v_fma_f32 v21, 0xbf788fa5, v47, -v22
	v_fmac_f32_e32 v45, 0xbe750f2a, v10
	v_dual_add_f32 v22, v25, v26 :: v_dual_fmamk_f32 v25, v47, 0xbeb58ec6, v40
	s_delay_alu instid0(VALU_DEP_3) | instskip(NEXT) | instid1(VALU_DEP_3)
	v_dual_mul_f32 v26, 0xbeb58ec6, v18 :: v_dual_add_f32 v21, v21, v23
	v_add_f32_e32 v23, v45, v27
	v_dual_mul_f32 v27, 0x3eedf032, v42 :: v_dual_add_f32 v44, v46, v44
	s_delay_alu instid0(VALU_DEP_3) | instskip(SKIP_2) | instid1(VALU_DEP_4)
	v_dual_add_f32 v25, v25, v30 :: v_dual_fmamk_f32 v30, v10, 0xbf6f5d39, v26
	v_fma_f32 v40, 0xbeb58ec6, v47, -v40
	v_fmac_f32_e32 v26, 0x3f6f5d39, v10
	v_dual_fmamk_f32 v45, v47, 0x3f62ad3f, v27 :: v_dual_mul_f32 v46, 0x3f62ad3f, v18
	s_delay_alu instid0(VALU_DEP_4) | instskip(NEXT) | instid1(VALU_DEP_4)
	v_add_f32_e32 v30, v30, v33
	v_add_f32_e32 v28, v40, v28
	s_delay_alu instid0(VALU_DEP_3) | instskip(NEXT) | instid1(VALU_DEP_4)
	v_dual_add_f32 v26, v26, v31 :: v_dual_add_f32 v31, v45, v32
	v_fmamk_f32 v32, v10, 0xbeedf032, v46
	v_mul_f32_e32 v33, 0xbf52af12, v42
	v_fma_f32 v27, 0x3f62ad3f, v47, -v27
	v_mul_f32_e32 v40, 0x3f116cb1, v18
	v_mul_f32_e32 v42, 0xbf29c268, v42
	v_add_f32_e32 v32, v32, v34
	v_fmamk_f32 v34, v47, 0x3f116cb1, v33
	v_add_f32_e32 v27, v27, v29
	v_fmamk_f32 v29, v10, 0x3f52af12, v40
	v_fma_f32 v33, 0x3f116cb1, v47, -v33
	v_fmac_f32_e32 v40, 0xbf52af12, v10
	v_mul_f32_e32 v18, 0xbf3f9e67, v18
	s_delay_alu instid0(VALU_DEP_4) | instskip(SKIP_4) | instid1(VALU_DEP_4)
	v_dual_fmac_f32 v46, 0x3eedf032, v10 :: v_dual_add_f32 v29, v29, v35
	v_fmamk_f32 v35, v47, 0xbf3f9e67, v42
	v_add_f32_e32 v33, v33, v36
	v_sub_f32_e32 v36, v12, v16
	v_dual_add_f32 v37, v40, v37 :: v_dual_add_f32 v40, v41, v15
	v_dual_add_f32 v35, v35, v43 :: v_dual_add_f32 v12, v12, v16
	s_delay_alu instid0(VALU_DEP_3) | instskip(SKIP_3) | instid1(VALU_DEP_4)
	v_dual_mul_f32 v43, 0xbf6f5d39, v36 :: v_dual_add_f32 v34, v34, v39
	v_fmamk_f32 v39, v10, 0x3f29c268, v18
	v_fma_f32 v16, 0xbf3f9e67, v47, -v42
	v_fmac_f32_e32 v18, 0xbf29c268, v10
	v_dual_sub_f32 v10, v41, v15 :: v_dual_fmamk_f32 v15, v40, 0xbeb58ec6, v43
	v_mul_f32_e32 v41, 0xbeb58ec6, v12
	s_delay_alu instid0(VALU_DEP_3) | instskip(NEXT) | instid1(VALU_DEP_3)
	v_dual_add_f32 v8, v16, v8 :: v_dual_add_f32 v9, v18, v9
	v_dual_mul_f32 v16, 0x3f29c268, v36 :: v_dual_add_f32 v11, v15, v11
	s_delay_alu instid0(VALU_DEP_3)
	v_fmamk_f32 v15, v10, 0x3f6f5d39, v41
	v_fma_f32 v18, 0xbeb58ec6, v40, -v43
	v_fmac_f32_e32 v41, 0xbf6f5d39, v10
	v_mul_f32_e32 v42, 0xbf3f9e67, v12
	v_mul_f32_e32 v43, 0x3df6dbef, v12
	v_add_f32_e32 v15, v15, v17
	v_dual_fmamk_f32 v17, v40, 0xbf3f9e67, v16 :: v_dual_add_f32 v18, v18, v24
	s_delay_alu instid0(VALU_DEP_4) | instskip(SKIP_2) | instid1(VALU_DEP_4)
	v_dual_add_f32 v19, v41, v19 :: v_dual_fmamk_f32 v24, v10, 0xbf29c268, v42
	v_mul_f32_e32 v41, 0x3eedf032, v36
	v_fma_f32 v16, 0xbf3f9e67, v40, -v16
	v_dual_fmac_f32 v42, 0x3f29c268, v10 :: v_dual_add_f32 v17, v17, v20
	s_delay_alu instid0(VALU_DEP_4) | instskip(NEXT) | instid1(VALU_DEP_4)
	v_add_f32_e32 v20, v24, v22
	v_fmamk_f32 v22, v40, 0x3f62ad3f, v41
	v_mul_f32_e32 v24, 0x3f62ad3f, v12
	s_delay_alu instid0(VALU_DEP_4) | instskip(NEXT) | instid1(VALU_DEP_3)
	v_dual_add_f32 v16, v16, v21 :: v_dual_add_f32 v21, v42, v23
	v_dual_mul_f32 v23, 0xbf7e222b, v36 :: v_dual_add_f32 v22, v22, v25
	s_delay_alu instid0(VALU_DEP_3) | instskip(SKIP_2) | instid1(VALU_DEP_4)
	v_fmamk_f32 v25, v10, 0xbeedf032, v24
	v_fmac_f32_e32 v24, 0x3eedf032, v10
	v_fma_f32 v41, 0x3f62ad3f, v40, -v41
	v_fmamk_f32 v42, v40, 0x3df6dbef, v23
	v_fma_f32 v23, 0x3df6dbef, v40, -v23
	v_add_f32_e32 v25, v25, v30
	v_add_f32_e32 v24, v24, v26
	v_fmamk_f32 v30, v10, 0x3f7e222b, v43
	v_dual_add_f32 v26, v42, v31 :: v_dual_mul_f32 v31, 0x3e750f2a, v36
	v_add_f32_e32 v28, v41, v28
	v_mul_f32_e32 v41, 0xbf788fa5, v12
	s_delay_alu instid0(VALU_DEP_4) | instskip(NEXT) | instid1(VALU_DEP_4)
	v_dual_add_f32 v30, v30, v32 :: v_dual_add_f32 v23, v23, v27
	v_fmamk_f32 v32, v40, 0xbf788fa5, v31
	v_fma_f32 v31, 0xbf788fa5, v40, -v31
	s_delay_alu instid0(VALU_DEP_4) | instskip(SKIP_2) | instid1(VALU_DEP_4)
	v_fmamk_f32 v27, v10, 0xbe750f2a, v41
	v_mul_f32_e32 v36, 0x3f52af12, v36
	v_fmac_f32_e32 v41, 0x3e750f2a, v10
	v_dual_add_f32 v32, v32, v34 :: v_dual_add_f32 v31, v31, v33
	v_sub_f32_e32 v33, v7, v14
	v_add_f32_e32 v27, v27, v29
	v_dual_fmamk_f32 v29, v40, 0x3f116cb1, v36 :: v_dual_mul_f32 v12, 0x3f116cb1, v12
	v_add_f32_e32 v34, v41, v37
	v_add_f32_e32 v37, v6, v13
	v_mul_f32_e32 v41, 0xbf29c268, v33
	v_add_f32_e32 v7, v7, v14
	v_fmac_f32_e32 v43, 0xbf7e222b, v10
	v_add_f32_e32 v29, v29, v35
	v_fmamk_f32 v35, v10, 0xbf52af12, v12
	v_fma_f32 v14, 0x3f116cb1, v40, -v36
	v_fmac_f32_e32 v12, 0x3f52af12, v10
	v_sub_f32_e32 v6, v6, v13
	v_dual_fmamk_f32 v10, v37, 0xbf3f9e67, v41 :: v_dual_mul_f32 v13, 0xbf3f9e67, v7
	s_delay_alu instid0(VALU_DEP_3) | instskip(SKIP_1) | instid1(VALU_DEP_3)
	v_dual_add_f32 v8, v14, v8 :: v_dual_add_f32 v9, v12, v9
	v_mul_f32_e32 v12, 0x3f7e222b, v33
	v_add_f32_e32 v10, v10, v11
	s_delay_alu instid0(VALU_DEP_4) | instskip(SKIP_3) | instid1(VALU_DEP_4)
	v_fmamk_f32 v11, v6, 0x3f29c268, v13
	v_fma_f32 v14, 0xbf3f9e67, v37, -v41
	v_fmac_f32_e32 v13, 0xbf29c268, v6
	v_mul_f32_e32 v36, 0x3df6dbef, v7
	v_dual_add_f32 v38, v50, v38 :: v_dual_add_f32 v11, v11, v15
	s_delay_alu instid0(VALU_DEP_4) | instskip(NEXT) | instid1(VALU_DEP_3)
	v_dual_fmamk_f32 v15, v37, 0x3df6dbef, v12 :: v_dual_add_f32 v14, v14, v18
	v_dual_add_f32 v13, v13, v19 :: v_dual_fmamk_f32 v18, v6, 0xbf7e222b, v36
	v_mul_f32_e32 v19, 0xbf52af12, v33
	v_fma_f32 v12, 0x3df6dbef, v37, -v12
	v_dual_fmac_f32 v36, 0x3f7e222b, v6 :: v_dual_add_f32 v39, v39, v44
	v_add_f32_e32 v15, v15, v17
	s_delay_alu instid0(VALU_DEP_4)
	v_dual_add_f32 v17, v18, v20 :: v_dual_fmamk_f32 v18, v37, 0x3f116cb1, v19
	v_mul_f32_e32 v20, 0x3f116cb1, v7
	v_add_f32_e32 v12, v12, v16
	v_add_f32_e32 v16, v36, v21
	v_mul_f32_e32 v21, 0x3e750f2a, v33
	v_fma_f32 v19, 0x3f116cb1, v37, -v19
	v_dual_add_f32 v38, v46, v38 :: v_dual_add_f32 v35, v35, v39
	v_add_f32_e32 v18, v18, v22
	v_fmamk_f32 v22, v6, 0x3f52af12, v20
	v_fmac_f32_e32 v20, 0xbf52af12, v6
	v_dual_fmamk_f32 v36, v37, 0xbf788fa5, v21 :: v_dual_mul_f32 v39, 0xbf788fa5, v7
	v_add_f32_e32 v19, v19, v28
	v_fma_f32 v21, 0xbf788fa5, v37, -v21
	v_mul_f32_e32 v28, 0x3f62ad3f, v7
	v_add_f32_e32 v38, v43, v38
	v_add_f32_e32 v22, v22, v25
	;; [unrolled: 1-line block ×3, first 2 shown]
	v_dual_add_f32 v24, v36, v26 :: v_dual_fmamk_f32 v25, v6, 0xbe750f2a, v39
	v_mul_f32_e32 v26, 0x3eedf032, v33
	v_fmac_f32_e32 v39, 0x3e750f2a, v6
	v_add_f32_e32 v21, v21, v23
	v_fmamk_f32 v23, v6, 0xbeedf032, v28
	v_mul_f32_e32 v33, 0xbf6f5d39, v33
	v_add_f32_e32 v25, v25, v30
	v_fmamk_f32 v30, v37, 0x3f62ad3f, v26
	v_add_f32_e32 v36, v39, v38
	v_fma_f32 v26, 0x3f62ad3f, v37, -v26
	v_add_f32_e32 v23, v23, v27
	v_fmamk_f32 v27, v37, 0xbeb58ec6, v33
	v_dual_mul_f32 v7, 0xbeb58ec6, v7 :: v_dual_add_f32 v38, v4, v5
	v_fmac_f32_e32 v28, 0x3eedf032, v6
	v_dual_add_f32 v26, v26, v31 :: v_dual_sub_f32 v31, v4, v5
	s_delay_alu instid0(VALU_DEP_4) | instskip(NEXT) | instid1(VALU_DEP_4)
	v_add_f32_e32 v27, v27, v29
	v_fmamk_f32 v29, v6, 0x3f6f5d39, v7
	v_fma_f32 v4, 0xbeb58ec6, v37, -v33
	v_fmac_f32_e32 v7, 0xbf6f5d39, v6
	v_sub_f32_e32 v33, v2, v3
	v_dual_mul_f32 v5, 0xbf788fa5, v38 :: v_dual_add_f32 v30, v30, v32
	v_add_f32_e32 v28, v28, v34
	v_add_f32_e32 v32, v2, v3
	v_dual_mul_f32 v34, 0xbe750f2a, v31 :: v_dual_add_f32 v37, v7, v9
	s_delay_alu instid0(VALU_DEP_4) | instskip(SKIP_1) | instid1(VALU_DEP_3)
	v_fmamk_f32 v3, v33, 0x3e750f2a, v5
	v_mul_f32_e32 v7, 0x3eedf032, v31
	v_dual_add_f32 v29, v29, v35 :: v_dual_fmamk_f32 v2, v32, 0xbf788fa5, v34
	v_add_f32_e32 v35, v4, v8
	v_fma_f32 v4, 0xbf788fa5, v32, -v34
	v_fmac_f32_e32 v5, 0xbe750f2a, v33
	v_mul_f32_e32 v9, 0x3f62ad3f, v38
	v_dual_add_f32 v3, v3, v11 :: v_dual_fmamk_f32 v6, v32, 0x3f62ad3f, v7
	v_dual_mul_f32 v11, 0xbf29c268, v31 :: v_dual_add_f32 v2, v2, v10
	s_delay_alu instid0(VALU_DEP_4) | instskip(NEXT) | instid1(VALU_DEP_4)
	v_dual_add_f32 v4, v4, v14 :: v_dual_add_f32 v5, v5, v13
	v_fmamk_f32 v8, v33, 0xbeedf032, v9
	s_delay_alu instid0(VALU_DEP_4) | instskip(SKIP_4) | instid1(VALU_DEP_4)
	v_add_f32_e32 v6, v6, v15
	v_fma_f32 v10, 0x3f62ad3f, v32, -v7
	v_fmac_f32_e32 v9, 0x3eedf032, v33
	v_dual_fmamk_f32 v13, v32, 0xbf3f9e67, v11 :: v_dual_mul_f32 v14, 0xbf3f9e67, v38
	v_mul_f32_e32 v15, 0x3f52af12, v31
	v_dual_add_f32 v7, v8, v17 :: v_dual_add_f32 v8, v10, v12
	s_delay_alu instid0(VALU_DEP_4) | instskip(NEXT) | instid1(VALU_DEP_4)
	v_add_f32_e32 v9, v9, v16
	v_add_f32_e32 v10, v13, v18
	v_fmamk_f32 v12, v33, 0x3f29c268, v14
	v_fma_f32 v13, 0xbf3f9e67, v32, -v11
	v_fmac_f32_e32 v14, 0xbf29c268, v33
	v_dual_fmamk_f32 v16, v32, 0x3f116cb1, v15 :: v_dual_mul_f32 v17, 0x3f116cb1, v38
	s_delay_alu instid0(VALU_DEP_3) | instskip(NEXT) | instid1(VALU_DEP_3)
	v_dual_add_f32 v11, v12, v22 :: v_dual_add_f32 v12, v13, v19
	v_add_f32_e32 v13, v14, v20
	s_delay_alu instid0(VALU_DEP_3) | instskip(NEXT) | instid1(VALU_DEP_4)
	v_add_f32_e32 v14, v16, v24
	v_fmamk_f32 v16, v33, 0xbf52af12, v17
	v_fma_f32 v18, 0x3f116cb1, v32, -v15
	v_mul_f32_e32 v19, 0xbf6f5d39, v31
	v_mul_f32_e32 v34, 0xbeb58ec6, v38
	s_delay_alu instid0(VALU_DEP_4) | instskip(NEXT) | instid1(VALU_DEP_4)
	v_dual_mul_f32 v22, 0x3f7e222b, v31 :: v_dual_add_f32 v15, v16, v25
	v_add_f32_e32 v16, v18, v21
	s_delay_alu instid0(VALU_DEP_4) | instskip(NEXT) | instid1(VALU_DEP_4)
	v_fma_f32 v21, 0xbeb58ec6, v32, -v19
	v_fmamk_f32 v20, v33, 0x3f6f5d39, v34
	v_mul_f32_e32 v25, 0x3df6dbef, v38
	v_fmamk_f32 v18, v32, 0xbeb58ec6, v19
	v_fma_f32 v24, 0x3df6dbef, v32, -v22
	v_fmac_f32_e32 v17, 0x3f52af12, v33
	v_dual_add_f32 v19, v20, v23 :: v_dual_add_f32 v20, v21, v26
	v_fmamk_f32 v21, v32, 0x3df6dbef, v22
	v_fmamk_f32 v23, v33, 0xbf7e222b, v25
	v_fmac_f32_e32 v25, 0x3f7e222b, v33
	v_fmac_f32_e32 v34, 0xbf6f5d39, v33
	v_add_f32_e32 v18, v18, v30
	s_delay_alu instid0(VALU_DEP_4) | instskip(NEXT) | instid1(VALU_DEP_4)
	v_dual_add_f32 v22, v21, v27 :: v_dual_add_f32 v23, v23, v29
	v_dual_add_f32 v24, v24, v35 :: v_dual_add_f32 v25, v25, v37
	v_add_f32_e32 v17, v17, v36
	v_add_f32_e32 v21, v34, v28
	ds_store_2addr_b64 v79, v[0:1], v[2:3] offset1:169
	ds_store_2addr_b64 v85, v[6:7], v[10:11] offset0:82 offset1:251
	ds_store_2addr_b64 v84, v[14:15], v[18:19] offset0:36 offset1:205
	;; [unrolled: 1-line block ×5, first 2 shown]
	ds_store_b64 v79, v[4:5] offset:16224
	global_wb scope:SCOPE_SE
	s_wait_dscnt 0x0
	s_barrier_signal -1
	s_barrier_wait -1
	global_inv scope:SCOPE_SE
	ds_load_2addr_b64 v[0:3], v79 offset1:169
	v_mad_co_u64_u32 v[18:19], null, s6, v54, 0
	v_mad_co_u64_u32 v[20:21], null, s4, v80, 0
	s_wait_dscnt 0x0
	v_mul_f32_e32 v4, v78, v1
	v_dual_mul_f32 v5, v78, v0 :: v_dual_mul_f32 v8, v76, v2
	s_delay_alu instid0(VALU_DEP_2) | instskip(SKIP_1) | instid1(VALU_DEP_3)
	v_fmac_f32_e32 v4, v77, v0
	v_mul_f32_e32 v0, v76, v3
	v_fma_f32 v1, v77, v1, -v5
	s_delay_alu instid0(VALU_DEP_3) | instskip(NEXT) | instid1(VALU_DEP_3)
	v_cvt_f64_f32_e32 v[4:5], v4
	v_fmac_f32_e32 v0, v75, v2
	s_delay_alu instid0(VALU_DEP_3) | instskip(SKIP_1) | instid1(VALU_DEP_3)
	v_cvt_f64_f32_e32 v[6:7], v1
	v_fma_f32 v1, v75, v3, -v8
	v_cvt_f64_f32_e32 v[8:9], v0
	s_delay_alu instid0(VALU_DEP_2)
	v_cvt_f64_f32_e32 v[10:11], v1
	ds_load_2addr_b64 v[0:3], v85 offset0:82 offset1:251
	s_wait_alu 0xfffe
	v_mul_f64_e32 v[12:13], s[2:3], v[4:5]
	s_wait_dscnt 0x0
	v_mul_f32_e32 v4, v74, v1
	v_mul_f64_e32 v[14:15], s[2:3], v[6:7]
	v_mov_b32_e32 v5, v21
	v_mul_f64_e32 v[8:9], s[2:3], v[8:9]
	s_delay_alu instid0(VALU_DEP_4) | instskip(SKIP_2) | instid1(VALU_DEP_3)
	v_fmac_f32_e32 v4, v73, v0
	v_mul_f64_e32 v[10:11], s[2:3], v[10:11]
	v_mul_f32_e32 v0, v74, v0
	v_cvt_f64_f32_e32 v[16:17], v4
	v_mov_b32_e32 v4, v19
	s_delay_alu instid0(VALU_DEP_3) | instskip(SKIP_1) | instid1(VALU_DEP_3)
	v_fma_f32 v0, v73, v1, -v0
	v_mul_f32_e32 v1, v70, v3
	v_mad_co_u64_u32 v[21:22], null, s7, v54, v[4:5]
	v_mad_co_u64_u32 v[22:23], null, s5, v80, v[5:6]
	ds_load_2addr_b64 v[4:7], v84 offset0:36 offset1:205
	v_cvt_f64_f32_e32 v[26:27], v0
	v_mul_f32_e32 v0, v70, v2
	v_fmac_f32_e32 v1, v69, v2
	v_mov_b32_e32 v19, v21
	v_mov_b32_e32 v21, v22
	s_delay_alu instid0(VALU_DEP_4) | instskip(NEXT) | instid1(VALU_DEP_4)
	v_fma_f32 v0, v69, v3, -v0
	v_cvt_f64_f32_e32 v[28:29], v1
	s_delay_alu instid0(VALU_DEP_4) | instskip(NEXT) | instid1(VALU_DEP_4)
	v_lshlrev_b64_e32 v[18:19], 3, v[18:19]
	v_lshlrev_b64_e32 v[20:21], 3, v[20:21]
	v_cvt_f32_f64_e32 v22, v[12:13]
	v_cvt_f32_f64_e32 v23, v[14:15]
	s_wait_dscnt 0x0
	v_mul_f32_e32 v12, v72, v5
	v_mul_f32_e32 v2, v72, v4
	v_cvt_f32_f64_e32 v24, v[8:9]
	v_mul_f32_e32 v13, v68, v7
	v_cvt_f32_f64_e32 v25, v[10:11]
	ds_load_2addr_b64 v[8:11], v83 offset0:54 offset1:223
	v_fmac_f32_e32 v12, v71, v4
	v_fma_f32 v14, v71, v5, -v2
	v_fmac_f32_e32 v13, v67, v6
	v_cvt_f64_f32_e32 v[4:5], v0
	ds_load_2addr_b64 v[0:3], v82 offset0:72 offset1:241
	v_cvt_f64_f32_e32 v[30:31], v12
	v_cvt_f64_f32_e32 v[32:33], v14
	;; [unrolled: 1-line block ×3, first 2 shown]
	ds_load_2addr_b64 v[12:15], v81 offset0:26 offset1:195
	v_mul_f32_e32 v6, v68, v6
	v_mul_f64_e32 v[16:17], s[2:3], v[16:17]
	v_mul_f64_e32 v[26:27], s[2:3], v[26:27]
	s_delay_alu instid0(VALU_DEP_3)
	v_fma_f32 v6, v67, v7, -v6
	s_wait_dscnt 0x2
	v_mul_f32_e32 v36, v66, v9
	v_dual_mul_f32 v37, v66, v8 :: v_dual_mul_f32 v38, v64, v11
	v_mul_f32_e32 v39, v64, v10
	v_cvt_f64_f32_e32 v[6:7], v6
	s_delay_alu instid0(VALU_DEP_4) | instskip(NEXT) | instid1(VALU_DEP_4)
	v_fmac_f32_e32 v36, v65, v8
	v_fma_f32 v37, v65, v9, -v37
	v_fmac_f32_e32 v38, v63, v10
	v_fma_f32 v40, v63, v11, -v39
	s_wait_dscnt 0x0
	v_mul_f32_e32 v46, v53, v13
	v_cvt_f64_f32_e32 v[8:9], v36
	v_cvt_f64_f32_e32 v[10:11], v37
	;; [unrolled: 1-line block ×3, first 2 shown]
	ds_load_b64 v[38:39], v79 offset:16224
	v_mul_f32_e32 v42, v58, v1
	v_dual_mul_f32 v43, v58, v0 :: v_dual_mul_f32 v44, v56, v3
	v_mul_f32_e32 v45, v56, v2
	v_fmac_f32_e32 v46, v52, v12
	v_mul_f32_e32 v12, v53, v12
	v_mul_f32_e32 v48, v60, v15
	v_dual_mul_f32 v49, v60, v14 :: v_dual_fmac_f32 v42, v57, v0
	v_fma_f32 v43, v57, v1, -v43
	v_fmac_f32_e32 v44, v55, v2
	v_fma_f32 v45, v55, v3, -v45
	v_cvt_f64_f32_e32 v[40:41], v40
	v_fma_f32 v12, v52, v13, -v12
	v_fmac_f32_e32 v48, v59, v14
	v_fma_f32 v49, v59, v15, -v49
	v_cvt_f64_f32_e32 v[0:1], v42
	v_cvt_f64_f32_e32 v[2:3], v43
	;; [unrolled: 1-line block ×3, first 2 shown]
	s_wait_dscnt 0x0
	v_mul_f32_e32 v50, v62, v39
	v_mul_f32_e32 v51, v62, v38
	v_cvt_f64_f32_e32 v[44:45], v45
	v_cvt_f64_f32_e32 v[46:47], v46
	;; [unrolled: 1-line block ×3, first 2 shown]
	v_fmac_f32_e32 v50, v61, v38
	v_fma_f32 v51, v61, v39, -v51
	v_cvt_f64_f32_e32 v[14:15], v48
	v_cvt_f64_f32_e32 v[38:39], v49
	v_add_co_u32 v52, vcc_lo, s0, v18
	v_cvt_f64_f32_e32 v[48:49], v50
	v_cvt_f64_f32_e32 v[50:51], v51
	s_wait_alu 0xfffd
	v_add_co_ci_u32_e32 v53, vcc_lo, s1, v19, vcc_lo
	v_mul_f64_e32 v[18:19], s[2:3], v[28:29]
	v_mul_f64_e32 v[4:5], s[2:3], v[4:5]
	v_add_co_u32 v20, vcc_lo, v52, v20
	v_mul_f64_e32 v[28:29], s[2:3], v[30:31]
	v_mul_f64_e32 v[30:31], s[2:3], v[32:33]
	v_mul_f64_e32 v[34:35], s[2:3], v[34:35]
	v_mul_f64_e32 v[6:7], s[2:3], v[6:7]
	s_wait_alu 0xfffd
	v_add_co_ci_u32_e32 v21, vcc_lo, v53, v21, vcc_lo
	s_mul_u64 s[0:1], s[4:5], 0x548
	v_mul_f64_e32 v[8:9], s[2:3], v[8:9]
	s_wait_alu 0xfffe
	v_add_co_u32 v32, vcc_lo, v20, s0
	v_mul_f64_e32 v[10:11], s[2:3], v[10:11]
	s_wait_alu 0xfffd
	v_add_co_ci_u32_e32 v33, vcc_lo, s1, v21, vcc_lo
	s_clause 0x1
	global_store_b64 v[20:21], v[22:23], off
	global_store_b64 v[32:33], v[24:25], off
	v_mul_f64_e32 v[20:21], s[2:3], v[36:37]
	v_mul_f64_e32 v[22:23], s[2:3], v[40:41]
	;; [unrolled: 1-line block ×8, first 2 shown]
	v_cvt_f32_f64_e32 v16, v[16:17]
	v_cvt_f32_f64_e32 v17, v[26:27]
	v_mul_f64_e32 v[14:15], s[2:3], v[14:15]
	v_mul_f64_e32 v[38:39], s[2:3], v[38:39]
	v_add_co_u32 v26, vcc_lo, v32, s0
	v_mul_f64_e32 v[42:43], s[2:3], v[48:49]
	v_mul_f64_e32 v[44:45], s[2:3], v[50:51]
	s_wait_alu 0xfffd
	v_add_co_ci_u32_e32 v27, vcc_lo, s1, v33, vcc_lo
	v_cvt_f32_f64_e32 v18, v[18:19]
	v_cvt_f32_f64_e32 v19, v[4:5]
	v_add_co_u32 v4, vcc_lo, v26, s0
	v_cvt_f32_f64_e32 v28, v[28:29]
	v_cvt_f32_f64_e32 v29, v[30:31]
	;; [unrolled: 1-line block ×4, first 2 shown]
	s_wait_alu 0xfffd
	v_add_co_ci_u32_e32 v5, vcc_lo, s1, v27, vcc_lo
	v_add_co_u32 v30, vcc_lo, v4, s0
	v_cvt_f32_f64_e32 v6, v[8:9]
	s_wait_alu 0xfffd
	s_delay_alu instid0(VALU_DEP_3) | instskip(SKIP_3) | instid1(VALU_DEP_3)
	v_add_co_ci_u32_e32 v31, vcc_lo, s1, v5, vcc_lo
	v_cvt_f32_f64_e32 v7, v[10:11]
	v_add_co_u32 v8, vcc_lo, v30, s0
	s_wait_alu 0xfffd
	v_add_co_ci_u32_e32 v9, vcc_lo, s1, v31, vcc_lo
	v_cvt_f32_f64_e32 v10, v[20:21]
	v_cvt_f32_f64_e32 v11, v[22:23]
	;; [unrolled: 1-line block ×8, first 2 shown]
	v_add_co_u32 v22, vcc_lo, v8, s0
	v_cvt_f32_f64_e32 v12, v[14:15]
	v_cvt_f32_f64_e32 v13, v[38:39]
	s_wait_alu 0xfffd
	v_add_co_ci_u32_e32 v23, vcc_lo, s1, v9, vcc_lo
	v_cvt_f32_f64_e32 v14, v[42:43]
	v_cvt_f32_f64_e32 v15, v[44:45]
	global_store_b64 v[26:27], v[16:17], off
	v_add_co_u32 v16, vcc_lo, v22, s0
	s_wait_alu 0xfffd
	v_add_co_ci_u32_e32 v17, vcc_lo, s1, v23, vcc_lo
	global_store_b64 v[4:5], v[18:19], off
	v_add_co_u32 v4, vcc_lo, v16, s0
	s_wait_alu 0xfffd
	v_add_co_ci_u32_e32 v5, vcc_lo, s1, v17, vcc_lo
	;; [unrolled: 4-line block ×6, first 2 shown]
	global_store_b64 v[4:5], v[0:1], off
	global_store_b64 v[18:19], v[2:3], off
	;; [unrolled: 1-line block ×5, first 2 shown]
.LBB0_2:
	s_nop 0
	s_sendmsg sendmsg(MSG_DEALLOC_VGPRS)
	s_endpgm
	.section	.rodata,"a",@progbits
	.p2align	6, 0x0
	.amdhsa_kernel bluestein_single_back_len2197_dim1_sp_op_CI_CI
		.amdhsa_group_segment_fixed_size 17576
		.amdhsa_private_segment_fixed_size 0
		.amdhsa_kernarg_size 104
		.amdhsa_user_sgpr_count 2
		.amdhsa_user_sgpr_dispatch_ptr 0
		.amdhsa_user_sgpr_queue_ptr 0
		.amdhsa_user_sgpr_kernarg_segment_ptr 1
		.amdhsa_user_sgpr_dispatch_id 0
		.amdhsa_user_sgpr_private_segment_size 0
		.amdhsa_wavefront_size32 1
		.amdhsa_uses_dynamic_stack 0
		.amdhsa_enable_private_segment 0
		.amdhsa_system_sgpr_workgroup_id_x 1
		.amdhsa_system_sgpr_workgroup_id_y 0
		.amdhsa_system_sgpr_workgroup_id_z 0
		.amdhsa_system_sgpr_workgroup_info 0
		.amdhsa_system_vgpr_workitem_id 0
		.amdhsa_next_free_vgpr 186
		.amdhsa_next_free_sgpr 20
		.amdhsa_reserve_vcc 1
		.amdhsa_float_round_mode_32 0
		.amdhsa_float_round_mode_16_64 0
		.amdhsa_float_denorm_mode_32 3
		.amdhsa_float_denorm_mode_16_64 3
		.amdhsa_fp16_overflow 0
		.amdhsa_workgroup_processor_mode 1
		.amdhsa_memory_ordered 1
		.amdhsa_forward_progress 0
		.amdhsa_round_robin_scheduling 0
		.amdhsa_exception_fp_ieee_invalid_op 0
		.amdhsa_exception_fp_denorm_src 0
		.amdhsa_exception_fp_ieee_div_zero 0
		.amdhsa_exception_fp_ieee_overflow 0
		.amdhsa_exception_fp_ieee_underflow 0
		.amdhsa_exception_fp_ieee_inexact 0
		.amdhsa_exception_int_div_zero 0
	.end_amdhsa_kernel
	.text
.Lfunc_end0:
	.size	bluestein_single_back_len2197_dim1_sp_op_CI_CI, .Lfunc_end0-bluestein_single_back_len2197_dim1_sp_op_CI_CI
                                        ; -- End function
	.section	.AMDGPU.csdata,"",@progbits
; Kernel info:
; codeLenInByte = 22196
; NumSgprs: 22
; NumVgprs: 186
; ScratchSize: 0
; MemoryBound: 0
; FloatMode: 240
; IeeeMode: 1
; LDSByteSize: 17576 bytes/workgroup (compile time only)
; SGPRBlocks: 2
; VGPRBlocks: 23
; NumSGPRsForWavesPerEU: 22
; NumVGPRsForWavesPerEU: 186
; Occupancy: 8
; WaveLimiterHint : 1
; COMPUTE_PGM_RSRC2:SCRATCH_EN: 0
; COMPUTE_PGM_RSRC2:USER_SGPR: 2
; COMPUTE_PGM_RSRC2:TRAP_HANDLER: 0
; COMPUTE_PGM_RSRC2:TGID_X_EN: 1
; COMPUTE_PGM_RSRC2:TGID_Y_EN: 0
; COMPUTE_PGM_RSRC2:TGID_Z_EN: 0
; COMPUTE_PGM_RSRC2:TIDIG_COMP_CNT: 0
	.text
	.p2alignl 7, 3214868480
	.fill 96, 4, 3214868480
	.type	__hip_cuid_33b7c42d3ead971d,@object ; @__hip_cuid_33b7c42d3ead971d
	.section	.bss,"aw",@nobits
	.globl	__hip_cuid_33b7c42d3ead971d
__hip_cuid_33b7c42d3ead971d:
	.byte	0                               ; 0x0
	.size	__hip_cuid_33b7c42d3ead971d, 1

	.ident	"AMD clang version 19.0.0git (https://github.com/RadeonOpenCompute/llvm-project roc-6.4.0 25133 c7fe45cf4b819c5991fe208aaa96edf142730f1d)"
	.section	".note.GNU-stack","",@progbits
	.addrsig
	.addrsig_sym __hip_cuid_33b7c42d3ead971d
	.amdgpu_metadata
---
amdhsa.kernels:
  - .args:
      - .actual_access:  read_only
        .address_space:  global
        .offset:         0
        .size:           8
        .value_kind:     global_buffer
      - .actual_access:  read_only
        .address_space:  global
        .offset:         8
        .size:           8
        .value_kind:     global_buffer
      - .actual_access:  read_only
        .address_space:  global
        .offset:         16
        .size:           8
        .value_kind:     global_buffer
      - .actual_access:  read_only
        .address_space:  global
        .offset:         24
        .size:           8
        .value_kind:     global_buffer
      - .actual_access:  read_only
        .address_space:  global
        .offset:         32
        .size:           8
        .value_kind:     global_buffer
      - .offset:         40
        .size:           8
        .value_kind:     by_value
      - .address_space:  global
        .offset:         48
        .size:           8
        .value_kind:     global_buffer
      - .address_space:  global
        .offset:         56
        .size:           8
        .value_kind:     global_buffer
      - .address_space:  global
        .offset:         64
        .size:           8
        .value_kind:     global_buffer
      - .address_space:  global
        .offset:         72
        .size:           8
        .value_kind:     global_buffer
      - .offset:         80
        .size:           4
        .value_kind:     by_value
      - .address_space:  global
        .offset:         88
        .size:           8
        .value_kind:     global_buffer
      - .address_space:  global
        .offset:         96
        .size:           8
        .value_kind:     global_buffer
    .group_segment_fixed_size: 17576
    .kernarg_segment_align: 8
    .kernarg_segment_size: 104
    .language:       OpenCL C
    .language_version:
      - 2
      - 0
    .max_flat_workgroup_size: 169
    .name:           bluestein_single_back_len2197_dim1_sp_op_CI_CI
    .private_segment_fixed_size: 0
    .sgpr_count:     22
    .sgpr_spill_count: 0
    .symbol:         bluestein_single_back_len2197_dim1_sp_op_CI_CI.kd
    .uniform_work_group_size: 1
    .uses_dynamic_stack: false
    .vgpr_count:     186
    .vgpr_spill_count: 0
    .wavefront_size: 32
    .workgroup_processor_mode: 1
amdhsa.target:   amdgcn-amd-amdhsa--gfx1201
amdhsa.version:
  - 1
  - 2
...

	.end_amdgpu_metadata
